;; amdgpu-corpus repo=ROCm/rocFFT kind=compiled arch=gfx906 opt=O3
	.text
	.amdgcn_target "amdgcn-amd-amdhsa--gfx906"
	.amdhsa_code_object_version 6
	.protected	fft_rtc_fwd_len480_factors_10_8_6_wgs_64_tpt_16_halfLds_sp_ip_CI_unitstride_sbrr_dirReg ; -- Begin function fft_rtc_fwd_len480_factors_10_8_6_wgs_64_tpt_16_halfLds_sp_ip_CI_unitstride_sbrr_dirReg
	.globl	fft_rtc_fwd_len480_factors_10_8_6_wgs_64_tpt_16_halfLds_sp_ip_CI_unitstride_sbrr_dirReg
	.p2align	8
	.type	fft_rtc_fwd_len480_factors_10_8_6_wgs_64_tpt_16_halfLds_sp_ip_CI_unitstride_sbrr_dirReg,@function
fft_rtc_fwd_len480_factors_10_8_6_wgs_64_tpt_16_halfLds_sp_ip_CI_unitstride_sbrr_dirReg: ; @fft_rtc_fwd_len480_factors_10_8_6_wgs_64_tpt_16_halfLds_sp_ip_CI_unitstride_sbrr_dirReg
; %bb.0:
	s_load_dwordx2 s[12:13], s[4:5], 0x50
	s_load_dwordx4 s[8:11], s[4:5], 0x0
	s_load_dwordx2 s[2:3], s[4:5], 0x18
	v_lshrrev_b32_e32 v23, 4, v0
	v_mov_b32_e32 v3, 0
	v_mov_b32_e32 v1, 0
	s_waitcnt lgkmcnt(0)
	v_cmp_lt_u64_e64 s[0:1], s[10:11], 2
	v_lshl_or_b32 v5, s6, 2, v23
	v_mov_b32_e32 v6, v3
	s_and_b64 vcc, exec, s[0:1]
	v_mov_b32_e32 v2, 0
	s_cbranch_vccnz .LBB0_8
; %bb.1:
	s_load_dwordx2 s[0:1], s[4:5], 0x10
	s_add_u32 s6, s2, 8
	s_addc_u32 s7, s3, 0
	v_mov_b32_e32 v1, 0
	v_mov_b32_e32 v2, 0
	s_waitcnt lgkmcnt(0)
	s_add_u32 s14, s0, 8
	s_addc_u32 s15, s1, 0
	s_mov_b64 s[16:17], 1
.LBB0_2:                                ; =>This Inner Loop Header: Depth=1
	s_load_dwordx2 s[18:19], s[14:15], 0x0
                                        ; implicit-def: $vgpr7_vgpr8
	s_waitcnt lgkmcnt(0)
	v_or_b32_e32 v4, s19, v6
	v_cmp_ne_u64_e32 vcc, 0, v[3:4]
	s_and_saveexec_b64 s[0:1], vcc
	s_xor_b64 s[20:21], exec, s[0:1]
	s_cbranch_execz .LBB0_4
; %bb.3:                                ;   in Loop: Header=BB0_2 Depth=1
	v_cvt_f32_u32_e32 v4, s18
	v_cvt_f32_u32_e32 v7, s19
	s_sub_u32 s0, 0, s18
	s_subb_u32 s1, 0, s19
	v_mac_f32_e32 v4, 0x4f800000, v7
	v_rcp_f32_e32 v4, v4
	v_mul_f32_e32 v4, 0x5f7ffffc, v4
	v_mul_f32_e32 v7, 0x2f800000, v4
	v_trunc_f32_e32 v7, v7
	v_mac_f32_e32 v4, 0xcf800000, v7
	v_cvt_u32_f32_e32 v7, v7
	v_cvt_u32_f32_e32 v4, v4
	v_mul_lo_u32 v8, s0, v7
	v_mul_hi_u32 v9, s0, v4
	v_mul_lo_u32 v11, s1, v4
	v_mul_lo_u32 v10, s0, v4
	v_add_u32_e32 v8, v9, v8
	v_add_u32_e32 v8, v8, v11
	v_mul_hi_u32 v9, v4, v10
	v_mul_lo_u32 v11, v4, v8
	v_mul_hi_u32 v13, v4, v8
	v_mul_hi_u32 v12, v7, v10
	v_mul_lo_u32 v10, v7, v10
	v_mul_hi_u32 v14, v7, v8
	v_add_co_u32_e32 v9, vcc, v9, v11
	v_addc_co_u32_e32 v11, vcc, 0, v13, vcc
	v_mul_lo_u32 v8, v7, v8
	v_add_co_u32_e32 v9, vcc, v9, v10
	v_addc_co_u32_e32 v9, vcc, v11, v12, vcc
	v_addc_co_u32_e32 v10, vcc, 0, v14, vcc
	v_add_co_u32_e32 v8, vcc, v9, v8
	v_addc_co_u32_e32 v9, vcc, 0, v10, vcc
	v_add_co_u32_e32 v4, vcc, v4, v8
	v_addc_co_u32_e32 v7, vcc, v7, v9, vcc
	v_mul_lo_u32 v8, s0, v7
	v_mul_hi_u32 v9, s0, v4
	v_mul_lo_u32 v10, s1, v4
	v_mul_lo_u32 v11, s0, v4
	v_add_u32_e32 v8, v9, v8
	v_add_u32_e32 v8, v8, v10
	v_mul_lo_u32 v12, v4, v8
	v_mul_hi_u32 v13, v4, v11
	v_mul_hi_u32 v14, v4, v8
	;; [unrolled: 1-line block ×3, first 2 shown]
	v_mul_lo_u32 v11, v7, v11
	v_mul_hi_u32 v9, v7, v8
	v_add_co_u32_e32 v12, vcc, v13, v12
	v_addc_co_u32_e32 v13, vcc, 0, v14, vcc
	v_mul_lo_u32 v8, v7, v8
	v_add_co_u32_e32 v11, vcc, v12, v11
	v_addc_co_u32_e32 v10, vcc, v13, v10, vcc
	v_addc_co_u32_e32 v9, vcc, 0, v9, vcc
	v_add_co_u32_e32 v8, vcc, v10, v8
	v_addc_co_u32_e32 v9, vcc, 0, v9, vcc
	v_add_co_u32_e32 v4, vcc, v4, v8
	v_addc_co_u32_e32 v9, vcc, v7, v9, vcc
	v_mad_u64_u32 v[7:8], s[0:1], v5, v9, 0
	v_mul_hi_u32 v10, v5, v4
	v_add_co_u32_e32 v11, vcc, v10, v7
	v_addc_co_u32_e32 v12, vcc, 0, v8, vcc
	v_mad_u64_u32 v[7:8], s[0:1], v6, v4, 0
	v_mad_u64_u32 v[9:10], s[0:1], v6, v9, 0
	v_add_co_u32_e32 v4, vcc, v11, v7
	v_addc_co_u32_e32 v4, vcc, v12, v8, vcc
	v_addc_co_u32_e32 v7, vcc, 0, v10, vcc
	v_add_co_u32_e32 v4, vcc, v4, v9
	v_addc_co_u32_e32 v9, vcc, 0, v7, vcc
	v_mul_lo_u32 v10, s19, v4
	v_mul_lo_u32 v11, s18, v9
	v_mad_u64_u32 v[7:8], s[0:1], s18, v4, 0
	v_add3_u32 v8, v8, v11, v10
	v_sub_u32_e32 v10, v6, v8
	v_mov_b32_e32 v11, s19
	v_sub_co_u32_e32 v7, vcc, v5, v7
	v_subb_co_u32_e64 v10, s[0:1], v10, v11, vcc
	v_subrev_co_u32_e64 v11, s[0:1], s18, v7
	v_subbrev_co_u32_e64 v10, s[0:1], 0, v10, s[0:1]
	v_cmp_le_u32_e64 s[0:1], s19, v10
	v_cndmask_b32_e64 v12, 0, -1, s[0:1]
	v_cmp_le_u32_e64 s[0:1], s18, v11
	v_cndmask_b32_e64 v11, 0, -1, s[0:1]
	v_cmp_eq_u32_e64 s[0:1], s19, v10
	v_cndmask_b32_e64 v10, v12, v11, s[0:1]
	v_add_co_u32_e64 v11, s[0:1], 2, v4
	v_addc_co_u32_e64 v12, s[0:1], 0, v9, s[0:1]
	v_add_co_u32_e64 v13, s[0:1], 1, v4
	v_addc_co_u32_e64 v14, s[0:1], 0, v9, s[0:1]
	v_subb_co_u32_e32 v8, vcc, v6, v8, vcc
	v_cmp_ne_u32_e64 s[0:1], 0, v10
	v_cmp_le_u32_e32 vcc, s19, v8
	v_cndmask_b32_e64 v10, v14, v12, s[0:1]
	v_cndmask_b32_e64 v12, 0, -1, vcc
	v_cmp_le_u32_e32 vcc, s18, v7
	v_cndmask_b32_e64 v7, 0, -1, vcc
	v_cmp_eq_u32_e32 vcc, s19, v8
	v_cndmask_b32_e32 v7, v12, v7, vcc
	v_cmp_ne_u32_e32 vcc, 0, v7
	v_cndmask_b32_e64 v7, v13, v11, s[0:1]
	v_cndmask_b32_e32 v8, v9, v10, vcc
	v_cndmask_b32_e32 v7, v4, v7, vcc
.LBB0_4:                                ;   in Loop: Header=BB0_2 Depth=1
	s_andn2_saveexec_b64 s[0:1], s[20:21]
	s_cbranch_execz .LBB0_6
; %bb.5:                                ;   in Loop: Header=BB0_2 Depth=1
	v_cvt_f32_u32_e32 v4, s18
	s_sub_i32 s20, 0, s18
	v_rcp_iflag_f32_e32 v4, v4
	v_mul_f32_e32 v4, 0x4f7ffffe, v4
	v_cvt_u32_f32_e32 v4, v4
	v_mul_lo_u32 v7, s20, v4
	v_mul_hi_u32 v7, v4, v7
	v_add_u32_e32 v4, v4, v7
	v_mul_hi_u32 v4, v5, v4
	v_mul_lo_u32 v7, v4, s18
	v_add_u32_e32 v8, 1, v4
	v_sub_u32_e32 v7, v5, v7
	v_subrev_u32_e32 v9, s18, v7
	v_cmp_le_u32_e32 vcc, s18, v7
	v_cndmask_b32_e32 v7, v7, v9, vcc
	v_cndmask_b32_e32 v4, v4, v8, vcc
	v_add_u32_e32 v8, 1, v4
	v_cmp_le_u32_e32 vcc, s18, v7
	v_cndmask_b32_e32 v7, v4, v8, vcc
	v_mov_b32_e32 v8, v3
.LBB0_6:                                ;   in Loop: Header=BB0_2 Depth=1
	s_or_b64 exec, exec, s[0:1]
	v_mul_lo_u32 v4, v8, s18
	v_mul_lo_u32 v11, v7, s19
	v_mad_u64_u32 v[9:10], s[0:1], v7, s18, 0
	s_load_dwordx2 s[0:1], s[6:7], 0x0
	s_add_u32 s16, s16, 1
	v_add3_u32 v4, v10, v11, v4
	v_sub_co_u32_e32 v5, vcc, v5, v9
	v_subb_co_u32_e32 v4, vcc, v6, v4, vcc
	s_waitcnt lgkmcnt(0)
	v_mul_lo_u32 v4, s0, v4
	v_mul_lo_u32 v6, s1, v5
	v_mad_u64_u32 v[1:2], s[0:1], s0, v5, v[1:2]
	s_addc_u32 s17, s17, 0
	s_add_u32 s6, s6, 8
	v_add3_u32 v2, v6, v2, v4
	v_mov_b32_e32 v4, s10
	v_mov_b32_e32 v5, s11
	s_addc_u32 s7, s7, 0
	v_cmp_ge_u64_e32 vcc, s[16:17], v[4:5]
	s_add_u32 s14, s14, 8
	s_addc_u32 s15, s15, 0
	s_cbranch_vccnz .LBB0_9
; %bb.7:                                ;   in Loop: Header=BB0_2 Depth=1
	v_mov_b32_e32 v5, v7
	v_mov_b32_e32 v6, v8
	s_branch .LBB0_2
.LBB0_8:
	v_mov_b32_e32 v8, v6
	v_mov_b32_e32 v7, v5
.LBB0_9:
	s_lshl_b64 s[0:1], s[10:11], 3
	s_add_u32 s0, s2, s0
	s_addc_u32 s1, s3, s1
	s_load_dwordx2 s[2:3], s[0:1], 0x0
	s_load_dwordx2 s[6:7], s[4:5], 0x20
	v_and_b32_e32 v91, 15, v0
	v_or_b32_e32 v92, 16, v91
	v_or_b32_e32 v93, 32, v91
	s_waitcnt lgkmcnt(0)
	v_mul_lo_u32 v3, s2, v8
	v_mul_lo_u32 v4, s3, v7
	v_mad_u64_u32 v[1:2], s[0:1], s2, v7, v[1:2]
	v_cmp_gt_u64_e32 vcc, s[6:7], v[7:8]
	v_cmp_le_u64_e64 s[0:1], s[6:7], v[7:8]
	v_add3_u32 v2, v4, v2, v3
	v_or_b32_e32 v94, 48, v91
	s_and_saveexec_b64 s[2:3], s[0:1]
	s_xor_b64 s[0:1], exec, s[2:3]
; %bb.10:
	v_or_b32_e32 v92, 16, v91
	v_or_b32_e32 v93, 32, v91
	;; [unrolled: 1-line block ×3, first 2 shown]
; %bb.11:
	s_or_saveexec_b64 s[2:3], s[0:1]
	v_lshlrev_b64 v[24:25], 3, v[1:2]
	v_lshlrev_b32_e32 v90, 3, v91
                                        ; implicit-def: $vgpr16
                                        ; implicit-def: $vgpr53
                                        ; implicit-def: $vgpr61
                                        ; implicit-def: $vgpr63
                                        ; implicit-def: $vgpr57
                                        ; implicit-def: $vgpr65
                                        ; implicit-def: $vgpr67
                                        ; implicit-def: $vgpr59
                                        ; implicit-def: $vgpr69
                                        ; implicit-def: $vgpr10
                                        ; implicit-def: $vgpr12
                                        ; implicit-def: $vgpr45
                                        ; implicit-def: $vgpr47
                                        ; implicit-def: $vgpr37
                                        ; implicit-def: $vgpr49
                                        ; implicit-def: $vgpr51
                                        ; implicit-def: $vgpr43
                                        ; implicit-def: $vgpr55
                                        ; implicit-def: $vgpr8
                                        ; implicit-def: $vgpr5
                                        ; implicit-def: $vgpr20
                                        ; implicit-def: $vgpr22
                                        ; implicit-def: $vgpr18
                                        ; implicit-def: $vgpr35
                                        ; implicit-def: $vgpr30
                                        ; implicit-def: $vgpr39
                                        ; implicit-def: $vgpr33
                                        ; implicit-def: $vgpr14
                                        ; implicit-def: $vgpr41
                                        ; implicit-def: $vgpr71
	s_xor_b64 exec, exec, s[2:3]
	s_cbranch_execz .LBB0_13
; %bb.12:
	v_mov_b32_e32 v0, s13
	v_add_co_u32_e64 v1, s[0:1], s12, v24
	v_addc_co_u32_e64 v2, s[0:1], v0, v25, s[0:1]
	v_add_co_u32_e64 v0, s[0:1], v1, v90
	v_addc_co_u32_e64 v1, s[0:1], 0, v2, s[0:1]
	global_load_dwordx2 v[15:16], v[0:1], off
	global_load_dwordx2 v[9:10], v[0:1], off offset:128
	global_load_dwordx2 v[11:12], v[0:1], off offset:512
	;; [unrolled: 1-line block ×29, first 2 shown]
.LBB0_13:
	s_or_b64 exec, exec, s[2:3]
	s_waitcnt vmcnt(9)
	v_add_f32_e32 v1, v56, v66
	v_fma_f32 v26, -0.5, v1, v15
	v_sub_f32_e32 v1, v60, v56
	v_sub_f32_e32 v2, v58, v66
	v_add_f32_e32 v31, v1, v2
	v_add_f32_e32 v1, v60, v58
	;; [unrolled: 1-line block ×3, first 2 shown]
	v_fmac_f32_e32 v15, -0.5, v1
	v_sub_f32_e32 v28, v57, v67
	v_mov_b32_e32 v72, v15
	v_sub_f32_e32 v27, v61, v59
	v_fmac_f32_e32 v72, 0xbf737871, v28
	v_sub_f32_e32 v1, v56, v60
	v_sub_f32_e32 v2, v66, v58
	v_fmac_f32_e32 v15, 0x3f737871, v28
	v_fmac_f32_e32 v72, 0x3f167918, v27
	v_add_f32_e32 v1, v1, v2
	v_fmac_f32_e32 v15, 0xbf167918, v27
	v_fmac_f32_e32 v72, 0x3e9e377a, v1
	;; [unrolled: 1-line block ×3, first 2 shown]
	v_sub_f32_e32 v1, v62, v64
	s_waitcnt vmcnt(3)
	v_sub_f32_e32 v2, v68, v70
	v_add_f32_e32 v73, v1, v2
	v_add_f32_e32 v1, v64, v70
	;; [unrolled: 1-line block ×3, first 2 shown]
	v_fma_f32 v6, -0.5, v1, v52
	v_add_f32_e32 v1, v52, v62
	v_fmac_f32_e32 v52, -0.5, v2
	v_sub_f32_e32 v74, v65, v71
	v_mov_b32_e32 v99, v52
	v_sub_f32_e32 v2, v64, v62
	v_sub_f32_e32 v3, v70, v68
	v_fmac_f32_e32 v99, 0xbf737871, v74
	v_sub_f32_e32 v75, v63, v69
	v_fmac_f32_e32 v52, 0x3f737871, v74
	v_add_f32_e32 v2, v2, v3
	v_fmac_f32_e32 v99, 0x3f167918, v75
	v_fmac_f32_e32 v52, 0xbf167918, v75
	v_add_f32_e32 v0, v0, v56
	v_fmac_f32_e32 v99, 0x3e9e377a, v2
	v_fmac_f32_e32 v52, 0x3e9e377a, v2
	v_sub_f32_e32 v2, v63, v65
	v_sub_f32_e32 v3, v69, v71
	v_add_f32_e32 v0, v0, v66
	v_add_f32_e32 v76, v2, v3
	v_sub_f32_e32 v2, v65, v63
	v_sub_f32_e32 v3, v71, v69
	v_add_f32_e32 v79, v0, v58
	v_add_f32_e32 v0, v1, v64
	;; [unrolled: 1-line block ×5, first 2 shown]
	v_fma_f32 v100, -0.5, v3, v53
	v_sub_f32_e32 v77, v64, v70
	v_add_f32_e32 v64, v68, v0
	v_add_f32_e32 v0, v65, v71
	v_mov_b32_e32 v101, v100
	v_mul_u32_u24_e32 v78, 0x1e0, v23
	v_mov_b32_e32 v102, v6
	v_fma_f32 v23, -0.5, v0, v53
	v_fmac_f32_e32 v101, 0x3f737871, v77
	v_sub_f32_e32 v62, v62, v68
	v_fmac_f32_e32 v102, 0x3f737871, v75
	v_mov_b32_e32 v103, v23
	v_fmac_f32_e32 v101, 0xbf167918, v62
	v_fmac_f32_e32 v100, 0xbf737871, v77
	v_mov_b32_e32 v80, v26
	v_fmac_f32_e32 v102, 0x3f167918, v74
	v_fmac_f32_e32 v103, 0xbf737871, v62
	;; [unrolled: 1-line block ×8, first 2 shown]
	s_mov_b32 s0, 0x3f737871
	v_fmac_f32_e32 v80, 0x3f167918, v28
	v_fmac_f32_e32 v103, 0x3e9e377a, v76
	v_mul_f32_e32 v70, 0x3f4f1bbd, v102
	v_mul_f32_e32 v81, 0x3f737871, v101
	;; [unrolled: 1-line block ×3, first 2 shown]
	v_lshlrev_b32_e32 v68, 2, v78
	v_fmac_f32_e32 v6, 0xbf737871, v75
	v_fmac_f32_e32 v80, 0x3e9e377a, v31
	;; [unrolled: 1-line block ×4, first 2 shown]
	v_fma_f32 v82, v100, s0, -v2
	v_mul_u32_u24_e32 v78, 10, v91
	v_add_u32_e32 v83, 0, v68
	v_fmac_f32_e32 v6, 0xbf167918, v74
	v_fmac_f32_e32 v23, 0x3f737871, v62
	v_add_f32_e32 v0, v79, v64
	v_add_f32_e32 v1, v80, v70
	;; [unrolled: 1-line block ×4, first 2 shown]
	v_lshl_add_u32 v105, v78, 2, v83
	v_fmac_f32_e32 v26, 0xbf737871, v27
	v_fmac_f32_e32 v6, 0x3e9e377a, v73
	;; [unrolled: 1-line block ×3, first 2 shown]
	ds_write2_b64 v105, v[0:1], v[2:3] offset1:1
	v_fmac_f32_e32 v26, 0xbf167918, v28
	v_fmac_f32_e32 v23, 0x3e9e377a, v76
	s_mov_b32 s1, 0x3f167918
	v_mul_f32_e32 v2, 0x3f4f1bbd, v6
	v_fmac_f32_e32 v26, 0x3e9e377a, v31
	v_fma_f32 v27, v23, s1, -v2
	v_sub_f32_e32 v0, v80, v70
	v_sub_f32_e32 v1, v72, v81
	;; [unrolled: 1-line block ×3, first 2 shown]
	v_add_f32_e32 v2, v26, v27
	ds_write2_b64 v105, v[2:3], v[0:1] offset0:2 offset1:3
	v_sub_f32_e32 v1, v26, v27
	v_sub_f32_e32 v0, v15, v82
	ds_write_b64 v105, v[0:1] offset:32
	v_sub_f32_e32 v0, v44, v36
	v_sub_f32_e32 v1, v42, v48
	v_add_f32_e32 v26, v0, v1
	v_add_f32_e32 v0, v36, v48
	v_add_f32_e32 v1, v44, v42
	v_fma_f32 v27, -0.5, v0, v9
	v_add_f32_e32 v0, v9, v44
	v_fmac_f32_e32 v9, -0.5, v1
	v_sub_f32_e32 v28, v37, v49
	v_mov_b32_e32 v31, v9
	v_sub_f32_e32 v1, v36, v44
	v_sub_f32_e32 v2, v48, v42
	v_fmac_f32_e32 v31, 0xbf737871, v28
	v_sub_f32_e32 v62, v45, v43
	v_fmac_f32_e32 v9, 0x3f737871, v28
	v_add_f32_e32 v1, v1, v2
	v_fmac_f32_e32 v31, 0x3f167918, v62
	v_fmac_f32_e32 v9, 0xbf167918, v62
	;; [unrolled: 1-line block ×4, first 2 shown]
	v_sub_f32_e32 v1, v46, v40
	s_waitcnt vmcnt(1)
	v_sub_f32_e32 v2, v54, v50
	v_add_f32_e32 v64, v2, v1
	v_add_f32_e32 v1, v50, v40
	;; [unrolled: 1-line block ×3, first 2 shown]
	v_fma_f32 v106, -0.5, v1, v11
	v_add_f32_e32 v1, v11, v46
	v_fmac_f32_e32 v11, -0.5, v2
	v_sub_f32_e32 v70, v41, v51
	v_mov_b32_e32 v107, v11
	v_sub_f32_e32 v2, v40, v46
	v_sub_f32_e32 v3, v50, v54
	v_fmac_f32_e32 v107, 0xbf737871, v70
	v_sub_f32_e32 v72, v47, v55
	v_fmac_f32_e32 v11, 0x3f737871, v70
	v_add_f32_e32 v2, v3, v2
	v_fmac_f32_e32 v107, 0x3f167918, v72
	v_fmac_f32_e32 v11, 0xbf167918, v72
	v_add_f32_e32 v0, v0, v36
	v_fmac_f32_e32 v107, 0x3e9e377a, v2
	v_fmac_f32_e32 v11, 0x3e9e377a, v2
	v_sub_f32_e32 v2, v47, v41
	v_sub_f32_e32 v3, v55, v51
	v_add_f32_e32 v0, v0, v48
	v_add_f32_e32 v73, v3, v2
	v_sub_f32_e32 v2, v41, v47
	v_sub_f32_e32 v3, v51, v55
	v_add_f32_e32 v76, v0, v42
	v_add_f32_e32 v0, v1, v40
	;; [unrolled: 1-line block ×5, first 2 shown]
	v_fma_f32 v108, -0.5, v3, v12
	v_sub_f32_e32 v74, v40, v50
	v_add_f32_e32 v50, v54, v0
	v_add_f32_e32 v0, v51, v41
	v_mov_b32_e32 v109, v108
	v_sub_f32_e32 v75, v46, v54
	v_mov_b32_e32 v46, v106
	v_fma_f32 v40, -0.5, v0, v12
	v_fmac_f32_e32 v109, 0x3f737871, v74
	v_fmac_f32_e32 v46, 0x3f737871, v72
	v_mov_b32_e32 v110, v40
	v_fmac_f32_e32 v109, 0xbf167918, v75
	v_fmac_f32_e32 v108, 0xbf737871, v74
	v_mov_b32_e32 v77, v27
	v_fmac_f32_e32 v46, 0x3f167918, v70
	v_fmac_f32_e32 v110, 0xbf737871, v75
	;; [unrolled: 1-line block ×10, first 2 shown]
	v_mul_f32_e32 v54, 0x3f4f1bbd, v46
	v_mul_f32_e32 v78, 0x3f737871, v109
	;; [unrolled: 1-line block ×3, first 2 shown]
	v_fmac_f32_e32 v106, 0xbf737871, v72
	v_fmac_f32_e32 v77, 0x3e9e377a, v26
	;; [unrolled: 1-line block ×4, first 2 shown]
	v_fma_f32 v79, v108, s0, -v2
	v_mul_i32_i24_e32 v15, 10, v92
	v_fmac_f32_e32 v106, 0xbf167918, v70
	v_fmac_f32_e32 v40, 0x3f737871, v75
	v_add_f32_e32 v0, v76, v50
	v_add_f32_e32 v1, v77, v54
	;; [unrolled: 1-line block ×4, first 2 shown]
	v_lshl_add_u32 v15, v15, 2, v83
	v_fmac_f32_e32 v27, 0xbf737871, v62
	v_fmac_f32_e32 v106, 0x3e9e377a, v64
	;; [unrolled: 1-line block ×3, first 2 shown]
	ds_write2_b64 v15, v[0:1], v[2:3] offset1:1
	v_fmac_f32_e32 v27, 0xbf167918, v28
	v_fmac_f32_e32 v40, 0x3e9e377a, v73
	v_mul_f32_e32 v2, 0x3f4f1bbd, v106
	v_fmac_f32_e32 v27, 0x3e9e377a, v26
	v_fma_f32 v26, v40, s1, -v2
	v_sub_f32_e32 v0, v77, v54
	v_sub_f32_e32 v1, v31, v78
	;; [unrolled: 1-line block ×3, first 2 shown]
	v_add_f32_e32 v2, v27, v26
	ds_write2_b64 v15, v[2:3], v[0:1] offset0:2 offset1:3
	v_sub_f32_e32 v1, v27, v26
	v_sub_f32_e32 v0, v9, v79
	ds_write_b64 v15, v[0:1] offset:32
	v_sub_f32_e32 v0, v19, v21
	v_sub_f32_e32 v1, v38, v34
	v_add_f32_e32 v26, v0, v1
	v_add_f32_e32 v0, v21, v34
	;; [unrolled: 1-line block ×3, first 2 shown]
	v_fma_f32 v27, -0.5, v0, v7
	v_add_f32_e32 v0, v7, v19
	v_fmac_f32_e32 v7, -0.5, v1
	v_sub_f32_e32 v28, v22, v35
	v_mov_b32_e32 v31, v7
	v_sub_f32_e32 v1, v21, v19
	v_sub_f32_e32 v2, v34, v38
	v_fmac_f32_e32 v31, 0xbf737871, v28
	v_sub_f32_e32 v50, v20, v39
	v_fmac_f32_e32 v7, 0x3f737871, v28
	v_add_f32_e32 v1, v1, v2
	v_fmac_f32_e32 v31, 0x3f167918, v50
	v_fmac_f32_e32 v7, 0xbf167918, v50
	v_fmac_f32_e32 v31, 0x3e9e377a, v1
	v_fmac_f32_e32 v7, 0x3e9e377a, v1
	v_sub_f32_e32 v1, v13, v17
	s_waitcnt vmcnt(0)
	v_sub_f32_e32 v2, v32, v29
	v_add_f32_e32 v54, v2, v1
	v_add_f32_e32 v1, v17, v29
	;; [unrolled: 1-line block ×3, first 2 shown]
	v_fma_f32 v9, -0.5, v1, v4
	v_add_f32_e32 v1, v4, v13
	v_fmac_f32_e32 v4, -0.5, v2
	v_sub_f32_e32 v62, v18, v30
	v_mov_b32_e32 v111, v4
	v_add_f32_e32 v0, v0, v21
	v_sub_f32_e32 v2, v17, v13
	v_sub_f32_e32 v3, v29, v32
	v_fmac_f32_e32 v111, 0xbf737871, v62
	v_sub_f32_e32 v64, v14, v33
	v_fmac_f32_e32 v4, 0x3f737871, v62
	v_add_f32_e32 v0, v0, v34
	v_add_f32_e32 v2, v3, v2
	v_fmac_f32_e32 v111, 0x3f167918, v64
	v_fmac_f32_e32 v4, 0xbf167918, v64
	v_add_f32_e32 v74, v0, v38
	v_add_f32_e32 v0, v17, v1
	v_fmac_f32_e32 v111, 0x3e9e377a, v2
	v_fmac_f32_e32 v4, 0x3e9e377a, v2
	v_sub_f32_e32 v2, v14, v18
	v_sub_f32_e32 v3, v33, v30
	v_add_f32_e32 v0, v29, v0
	v_add_f32_e32 v70, v3, v2
	v_sub_f32_e32 v2, v18, v14
	v_sub_f32_e32 v3, v30, v33
	;; [unrolled: 1-line block ×3, first 2 shown]
	v_add_f32_e32 v29, v32, v0
	v_add_f32_e32 v0, v18, v30
	;; [unrolled: 1-line block ×4, first 2 shown]
	v_fma_f32 v17, -0.5, v0, v5
	v_fma_f32 v112, -0.5, v3, v5
	v_sub_f32_e32 v73, v13, v32
	v_mov_b32_e32 v115, v17
	v_mov_b32_e32 v113, v112
	;; [unrolled: 1-line block ×3, first 2 shown]
	v_fmac_f32_e32 v115, 0xbf737871, v73
	v_fmac_f32_e32 v113, 0x3f737871, v72
	;; [unrolled: 1-line block ×3, first 2 shown]
	v_mov_b32_e32 v75, v27
	v_fmac_f32_e32 v114, 0x3f737871, v64
	v_fmac_f32_e32 v115, 0xbf167918, v72
	;; [unrolled: 1-line block ×11, first 2 shown]
	v_mul_f32_e32 v32, 0x3f167918, v115
	v_mul_f32_e32 v76, 0x3e9e377a, v111
	;; [unrolled: 1-line block ×3, first 2 shown]
	v_fmac_f32_e32 v9, 0xbf737871, v64
	v_fmac_f32_e32 v75, 0x3e9e377a, v26
	;; [unrolled: 1-line block ×4, first 2 shown]
	v_fma_f32 v77, v112, s0, -v2
	v_mul_i32_i24_e32 v13, 10, v93
	v_fmac_f32_e32 v9, 0xbf167918, v62
	v_fmac_f32_e32 v17, 0x3f737871, v73
	v_add_f32_e32 v0, v74, v29
	v_add_f32_e32 v1, v75, v32
	;; [unrolled: 1-line block ×4, first 2 shown]
	v_lshl_add_u32 v13, v13, 2, v83
	v_fmac_f32_e32 v27, 0xbf737871, v50
	v_fmac_f32_e32 v9, 0x3e9e377a, v54
	;; [unrolled: 1-line block ×3, first 2 shown]
	ds_write2_b64 v13, v[0:1], v[2:3] offset1:1
	v_fmac_f32_e32 v27, 0xbf167918, v28
	v_fmac_f32_e32 v17, 0x3e9e377a, v70
	v_mul_f32_e32 v0, 0x3f4f1bbd, v9
	v_fmac_f32_e32 v27, 0x3e9e377a, v26
	v_fma_f32 v26, v17, s1, -v0
	v_add_f32_e32 v0, v27, v26
	v_sub_f32_e32 v27, v27, v26
	v_sub_f32_e32 v26, v7, v77
	v_lshlrev_b32_e32 v7, 2, v91
	v_sub_f32_e32 v1, v74, v29
	v_sub_f32_e32 v2, v75, v32
	;; [unrolled: 1-line block ×3, first 2 shown]
	v_add_u32_e32 v50, v83, v7
	v_add3_u32 v54, 0, v7, v68
	v_lshl_add_u32 v64, v93, 2, v83
	ds_write2_b64 v13, v[0:1], v[2:3] offset0:2 offset1:3
	ds_write_b64 v13, v[26:27] offset:32
	s_waitcnt lgkmcnt(0)
	; wave barrier
	s_waitcnt lgkmcnt(0)
	v_lshl_add_u32 v62, v92, 2, v83
	ds_read_b32 v97, v50
	v_add_u32_e32 v116, 0x400, v54
	ds_read_b32 v95, v64
	ds_read_b32 v96, v62
	ds_read_b32 v104, v54 offset:1808
	ds_read2_b32 v[88:89], v54 offset0:60 offset1:76
	ds_read2_b32 v[78:79], v54 offset0:92 offset1:120
	;; [unrolled: 1-line block ×8, first 2 shown]
	ds_read2_b32 v[28:29], v116 offset1:16
	ds_read2_b32 v[76:77], v116 offset0:120 offset1:136
	s_mov_b32 s5, 0xbf737871
	s_mov_b32 s4, 0xbf167918
	v_cmp_gt_u32_e64 s[0:1], 12, v91
	v_lshlrev_b32_e32 v70, 2, v94
                                        ; implicit-def: $vgpr98
                                        ; implicit-def: $vgpr73
	s_and_saveexec_b64 s[2:3], s[0:1]
	s_cbranch_execz .LBB0_15
; %bb.14:
	v_add3_u32 v0, 0, v70, v68
	ds_read2_b32 v[1:2], v54 offset0:108 offset1:168
	v_add_u32_e32 v3, 0x200, v54
	ds_read2_b32 v[26:27], v3 offset0:100 offset1:160
	ds_read2_b32 v[72:73], v116 offset0:92 offset1:152
	ds_read_b32 v0, v0
	ds_read_b32 v98, v54 offset:1872
	s_waitcnt lgkmcnt(3)
	v_mov_b32_e32 v3, v26
	v_mov_b32_e32 v26, v27
	s_waitcnt lgkmcnt(2)
	v_mov_b32_e32 v27, v72
.LBB0_15:
	s_or_b64 exec, exec, s[2:3]
	v_add_f32_e32 v72, v57, v67
	v_fma_f32 v72, -0.5, v72, v16
	v_sub_f32_e32 v58, v60, v58
	v_mov_b32_e32 v60, v72
	v_fmac_f32_e32 v60, 0xbf737871, v58
	v_sub_f32_e32 v56, v56, v66
	v_sub_f32_e32 v66, v61, v57
	;; [unrolled: 1-line block ×3, first 2 shown]
	v_fmac_f32_e32 v72, 0x3f737871, v58
	v_add_f32_e32 v7, v16, v61
	v_fmac_f32_e32 v60, 0xbf167918, v56
	v_add_f32_e32 v66, v66, v117
	;; [unrolled: 2-line block ×3, first 2 shown]
	v_add_f32_e32 v7, v7, v57
	v_fmac_f32_e32 v60, 0x3e9e377a, v66
	v_fmac_f32_e32 v72, 0x3e9e377a, v66
	v_add_f32_e32 v66, v61, v59
	v_add_f32_e32 v53, v53, v65
	;; [unrolled: 1-line block ×3, first 2 shown]
	v_fmac_f32_e32 v16, -0.5, v66
	v_add_f32_e32 v53, v53, v71
	v_add_f32_e32 v7, v7, v59
	v_mov_b32_e32 v66, v16
	v_sub_f32_e32 v57, v57, v61
	v_sub_f32_e32 v59, v67, v59
	v_fmac_f32_e32 v16, 0xbf737871, v56
	v_add_f32_e32 v53, v69, v53
	v_fmac_f32_e32 v66, 0x3f737871, v56
	v_add_f32_e32 v57, v57, v59
	;; [unrolled: 2-line block ×3, first 2 shown]
	v_mul_f32_e32 v59, 0x3e9e377a, v100
	v_sub_f32_e32 v53, v7, v53
	v_add_f32_e32 v7, v37, v49
	v_fmac_f32_e32 v16, 0x3e9e377a, v57
	v_fma_f32 v65, v52, s5, -v59
	v_mul_f32_e32 v23, 0x3f4f1bbd, v23
	v_fma_f32 v7, -0.5, v7, v10
	v_add_f32_e32 v59, v16, v65
	v_fma_f32 v6, v6, s4, -v23
	v_sub_f32_e32 v65, v16, v65
	v_sub_f32_e32 v16, v44, v42
	v_mov_b32_e32 v23, v7
	v_fmac_f32_e32 v23, 0xbf737871, v16
	v_sub_f32_e32 v36, v36, v48
	v_sub_f32_e32 v42, v45, v37
	v_sub_f32_e32 v44, v43, v49
	v_fmac_f32_e32 v7, 0x3f737871, v16
	v_fmac_f32_e32 v66, 0xbf167918, v58
	v_mul_f32_e32 v61, 0xbf167918, v102
	v_mul_f32_e32 v63, 0xbf737871, v99
	v_fmac_f32_e32 v23, 0xbf167918, v36
	v_add_f32_e32 v42, v42, v44
	v_fmac_f32_e32 v7, 0x3f167918, v36
	v_fmac_f32_e32 v66, 0x3e9e377a, v57
	;; [unrolled: 1-line block ×6, first 2 shown]
	v_add_f32_e32 v42, v45, v43
	v_add_f32_e32 v57, v60, v61
	;; [unrolled: 1-line block ×4, first 2 shown]
	v_sub_f32_e32 v60, v60, v61
	v_sub_f32_e32 v61, v66, v63
	;; [unrolled: 1-line block ×3, first 2 shown]
	v_add_f32_e32 v6, v10, v45
	v_fmac_f32_e32 v10, -0.5, v42
	v_add_f32_e32 v6, v6, v37
	v_mov_b32_e32 v44, v10
	v_sub_f32_e32 v37, v37, v45
	v_sub_f32_e32 v42, v49, v43
	v_fmac_f32_e32 v44, 0x3f737871, v36
	v_add_f32_e32 v37, v37, v42
	v_fmac_f32_e32 v10, 0xbf737871, v36
	v_mul_f32_e32 v42, 0x3e9e377a, v108
	v_fmac_f32_e32 v44, 0xbf167918, v16
	v_fmac_f32_e32 v10, 0x3f167918, v16
	v_mul_f32_e32 v16, 0xbf167918, v46
	v_mul_f32_e32 v45, 0xbf737871, v107
	v_fma_f32 v46, v11, s5, -v42
	v_mul_f32_e32 v11, 0x3f4f1bbd, v40
	v_fmac_f32_e32 v44, 0x3e9e377a, v37
	v_fmac_f32_e32 v10, 0x3e9e377a, v37
	v_add_f32_e32 v12, v12, v47
	v_fmac_f32_e32 v45, 0x3e9e377a, v109
	v_fma_f32 v40, v106, s4, -v11
	v_add_f32_e32 v12, v12, v41
	v_add_f32_e32 v41, v44, v45
	;; [unrolled: 1-line block ×4, first 2 shown]
	v_sub_f32_e32 v44, v44, v45
	v_sub_f32_e32 v45, v10, v46
	;; [unrolled: 1-line block ×3, first 2 shown]
	v_add_f32_e32 v7, v22, v35
	v_add_f32_e32 v6, v6, v49
	v_fmac_f32_e32 v16, 0x3f4f1bbd, v110
	v_fma_f32 v10, -0.5, v7, v8
	v_add_f32_e32 v6, v6, v43
	v_add_f32_e32 v37, v23, v16
	v_sub_f32_e32 v43, v23, v16
	v_sub_f32_e32 v7, v19, v38
	v_mov_b32_e32 v16, v10
	v_fmac_f32_e32 v16, 0xbf737871, v7
	v_sub_f32_e32 v19, v21, v34
	v_sub_f32_e32 v21, v20, v22
	;; [unrolled: 1-line block ×3, first 2 shown]
	v_fmac_f32_e32 v10, 0x3f737871, v7
	v_add_f32_e32 v12, v51, v12
	v_fmac_f32_e32 v16, 0xbf167918, v19
	v_add_f32_e32 v21, v21, v23
	;; [unrolled: 2-line block ×3, first 2 shown]
	v_fmac_f32_e32 v16, 0x3e9e377a, v21
	v_fmac_f32_e32 v10, 0x3e9e377a, v21
	v_add_f32_e32 v21, v20, v39
	v_add_f32_e32 v36, v6, v12
	v_sub_f32_e32 v12, v6, v12
	v_add_f32_e32 v6, v8, v20
	v_fmac_f32_e32 v8, -0.5, v21
	v_mov_b32_e32 v23, v8
	v_add_f32_e32 v5, v5, v14
	v_add_f32_e32 v6, v6, v22
	v_fmac_f32_e32 v23, 0x3f737871, v19
	v_sub_f32_e32 v20, v22, v20
	v_sub_f32_e32 v21, v35, v39
	v_fmac_f32_e32 v8, 0xbf737871, v19
	v_add_f32_e32 v5, v18, v5
	v_add_f32_e32 v6, v6, v35
	v_fmac_f32_e32 v23, 0xbf167918, v7
	v_add_f32_e32 v20, v20, v21
	v_fmac_f32_e32 v8, 0x3f167918, v7
	v_add_f32_e32 v5, v30, v5
	v_mul_f32_e32 v14, 0xbf737871, v111
	v_mul_f32_e32 v21, 0x3e9e377a, v112
	v_add_f32_e32 v6, v6, v39
	v_fmac_f32_e32 v23, 0x3e9e377a, v20
	v_fmac_f32_e32 v8, 0x3e9e377a, v20
	v_add_f32_e32 v5, v33, v5
	v_mul_f32_e32 v7, 0xbf167918, v114
	v_fmac_f32_e32 v14, 0x3e9e377a, v113
	v_fma_f32 v22, v4, s5, -v21
	v_mul_f32_e32 v4, 0x3f4f1bbd, v17
	v_add_f32_e32 v18, v6, v5
	v_fmac_f32_e32 v7, 0x3f4f1bbd, v115
	v_add_f32_e32 v20, v23, v14
	v_add_f32_e32 v21, v8, v22
	v_fma_f32 v9, v9, s4, -v4
	v_add_f32_e32 v19, v16, v7
	v_add_f32_e32 v4, v10, v9
	v_sub_f32_e32 v5, v6, v5
	v_sub_f32_e32 v6, v16, v7
	;; [unrolled: 1-line block ×5, first 2 shown]
	s_waitcnt lgkmcnt(0)
	; wave barrier
	s_waitcnt lgkmcnt(0)
	ds_write2_b64 v105, v[56:57], v[58:59] offset1:1
	ds_write2_b64 v105, v[52:53], v[60:61] offset0:2 offset1:3
	ds_write_b64 v105, v[65:66] offset:32
	ds_write2_b64 v15, v[36:37], v[41:42] offset1:1
	ds_write2_b64 v15, v[11:12], v[43:44] offset0:2 offset1:3
	ds_write_b64 v15, v[45:46] offset:32
	;; [unrolled: 3-line block ×3, first 2 shown]
	s_waitcnt lgkmcnt(0)
	; wave barrier
	s_waitcnt lgkmcnt(0)
	ds_read_b32 v51, v50
	ds_read2_b32 v[47:48], v54 offset0:60 offset1:76
	ds_read2_b32 v[41:42], v54 offset0:92 offset1:120
	;; [unrolled: 1-line block ×8, first 2 shown]
	ds_read2_b32 v[37:38], v116 offset1:16
	ds_read2_b32 v[22:23], v116 offset0:120 offset1:136
	ds_read_b32 v30, v64
	ds_read_b32 v49, v62
	ds_read_b32 v67, v54 offset:1808
                                        ; implicit-def: $vgpr40
                                        ; implicit-def: $vgpr53
	s_and_saveexec_b64 s[2:3], s[0:1]
	s_cbranch_execz .LBB0_17
; %bb.16:
	v_add_u32_e32 v7, 0x200, v54
	ds_read2_b32 v[7:8], v7 offset0:100 offset1:160
	v_add3_u32 v4, 0, v70, v68
	ds_read2_b32 v[5:6], v54 offset0:108 offset1:168
	v_add_u32_e32 v9, 0x400, v54
	ds_read2_b32 v[39:40], v9 offset0:92 offset1:152
	ds_read_b32 v4, v4
	ds_read_b32 v53, v54 offset:1872
	s_waitcnt lgkmcnt(4)
	v_mov_b32_e32 v33, v8
	s_waitcnt lgkmcnt(2)
	v_mov_b32_e32 v34, v39
.LBB0_17:
	s_or_b64 exec, exec, s[2:3]
	v_add_u32_e32 v8, -10, v91
	v_cmp_gt_u32_e64 s[2:3], 10, v91
	v_cndmask_b32_e64 v52, v8, v91, s[2:3]
	v_mul_i32_i24_e32 v8, 7, v52
	v_mov_b32_e32 v9, 0
	v_lshlrev_b64 v[8:9], 3, v[8:9]
	v_add_co_u32_e64 v12, s[2:3], s8, v8
	v_mov_b32_e32 v8, s9
	v_addc_co_u32_e64 v13, s[2:3], v8, v9, s[2:3]
	global_load_dwordx2 v[71:72], v[12:13], off offset:48
	global_load_dwordx4 v[99:102], v[12:13], off offset:32
	global_load_dwordx4 v[8:11], v[12:13], off offset:16
	global_load_dwordx4 v[57:60], v[12:13], off
	s_movk_i32 s2, 0xcd
	s_waitcnt vmcnt(3)
	v_mul_f32_e32 v63, v82, v72
	s_waitcnt vmcnt(2)
	v_mul_f32_e32 v66, v75, v102
	s_waitcnt lgkmcnt(7)
	v_fmac_f32_e32 v66, v21, v101
	s_waitcnt vmcnt(0)
	v_mul_f32_e32 v12, v47, v58
	v_fma_f32 v55, v88, v57, -v12
	v_mul_f32_e32 v56, v88, v58
	v_mul_f32_e32 v12, v42, v60
	v_fmac_f32_e32 v56, v47, v57
	v_fma_f32 v58, v79, v59, -v12
	v_mul_f32_e32 v12, v45, v9
	v_mul_f32_e32 v57, v86, v9
	v_fma_f32 v47, v86, v8, -v12
	v_fmac_f32_e32 v57, v45, v8
	v_mul_f32_e32 v8, v36, v11
	v_mul_f32_e32 v39, v79, v60
	v_fma_f32 v60, v32, v10, -v8
	v_mul_f32_e32 v8, v17, v100
	v_fma_f32 v45, v84, v99, -v8
	;; [unrolled: 2-line block ×3, first 2 shown]
	s_waitcnt lgkmcnt(6)
	v_mul_f32_e32 v8, v15, v72
	v_fma_f32 v61, v82, v71, -v8
	v_mul_lo_u16_sdwa v8, v92, s2 dst_sel:DWORD dst_unused:UNUSED_PAD src0_sel:BYTE_0 src1_sel:DWORD
	v_lshrrev_b16_e32 v9, 11, v8
	v_mul_lo_u16_e32 v8, 10, v9
	v_fmac_f32_e32 v39, v42, v59
	v_sub_u16_e32 v42, v92, v8
	v_mul_lo_u16_e32 v8, 7, v42
	v_mov_b32_e32 v12, 3
	v_mul_f32_e32 v59, v84, v100
	v_lshlrev_b32_sdwa v8, v12, v8 dst_sel:DWORD dst_unused:UNUSED_PAD src0_sel:DWORD src1_sel:BYTE_0
	v_fmac_f32_e32 v59, v17, v99
	v_fmac_f32_e32 v63, v15, v71
	global_load_dwordx2 v[71:72], v8, s[8:9] offset:48
	global_load_dwordx4 v[99:102], v8, s[8:9] offset:32
	global_load_dwordx4 v[12:15], v8, s[8:9] offset:16
	global_load_dwordx4 v[105:108], v8, s[8:9]
	v_mul_lo_u16_e32 v9, 0x50, v9
	v_or_b32_e32 v9, v9, v42
	v_mov_b32_e32 v42, 2
	v_lshlrev_b32_sdwa v9, v42, v9 dst_sel:DWORD dst_unused:UNUSED_PAD src0_sel:DWORD src1_sel:BYTE_0
	s_waitcnt vmcnt(1)
	v_mul_f32_e32 v17, v46, v13
	s_waitcnt vmcnt(0)
	v_mul_f32_e32 v8, v48, v106
	v_mul_f32_e32 v103, v89, v106
	;; [unrolled: 1-line block ×3, first 2 shown]
	v_fma_f32 v69, v89, v105, -v8
	v_fmac_f32_e32 v103, v48, v105
	s_waitcnt lgkmcnt(5)
	v_mul_f32_e32 v8, v43, v108
	v_fma_f32 v105, v87, v12, -v17
	v_fmac_f32_e32 v106, v46, v12
	s_waitcnt lgkmcnt(4)
	v_mul_f32_e32 v12, v37, v15
	v_fma_f32 v48, v80, v107, -v8
	v_mul_f32_e32 v8, v80, v108
	v_fma_f32 v46, v28, v14, -v12
	v_mul_f32_e32 v12, v18, v100
	v_fmac_f32_e32 v8, v43, v107
	v_fma_f32 v107, v85, v99, -v12
	v_mul_f32_e32 v100, v85, v100
	s_waitcnt lgkmcnt(3)
	v_mul_f32_e32 v12, v22, v102
	v_fmac_f32_e32 v100, v18, v99
	v_fma_f32 v99, v76, v101, -v12
	v_mul_f32_e32 v102, v76, v102
	v_mul_f32_e32 v12, v16, v72
	v_fmac_f32_e32 v102, v22, v101
	v_fma_f32 v101, v83, v71, -v12
	v_mul_lo_u16_sdwa v12, v93, s2 dst_sel:DWORD dst_unused:UNUSED_PAD src0_sel:BYTE_0 src1_sel:DWORD
	v_lshrrev_b16_e32 v13, 11, v12
	v_mul_f32_e32 v108, v83, v72
	v_mul_lo_u16_e32 v12, 10, v13
	v_fmac_f32_e32 v108, v16, v71
	v_sub_u16_e32 v43, v93, v12
	v_mov_b32_e32 v71, 7
	v_mul_u32_u24_sdwa v12, v43, v71 dst_sel:DWORD dst_unused:UNUSED_PAD src0_sel:BYTE_0 src1_sel:DWORD
	v_lshlrev_b32_e32 v12, 3, v12
	global_load_dwordx2 v[21:22], v12, s[8:9] offset:48
	global_load_dwordx4 v[82:85], v12, s[8:9] offset:32
	global_load_dwordx4 v[16:19], v12, s[8:9] offset:16
	global_load_dwordx4 v[86:89], v12, s[8:9]
	s_waitcnt vmcnt(0)
	v_mul_f32_e32 v12, v41, v87
	v_fma_f32 v109, v78, v86, -v12
	v_mul_f32_e32 v87, v78, v87
	v_mul_f32_e32 v12, v44, v89
	v_fmac_f32_e32 v87, v41, v86
	v_fma_f32 v86, v81, v88, -v12
	v_mul_f32_e32 v12, v81, v89
	v_mul_f32_e32 v41, v35, v17
	;; [unrolled: 1-line block ×3, first 2 shown]
	v_fmac_f32_e32 v12, v44, v88
	v_fma_f32 v88, v31, v16, -v41
	v_fmac_f32_e32 v89, v35, v16
	v_mul_f32_e32 v16, v38, v19
	v_fma_f32 v110, v29, v18, -v16
	v_mul_f32_e32 v16, v20, v83
	v_fma_f32 v111, v74, v82, -v16
	v_mul_f32_e32 v83, v74, v83
	v_mul_f32_e32 v16, v23, v85
	v_fmac_f32_e32 v83, v20, v82
	v_fma_f32 v82, v77, v84, -v16
	v_mul_f32_e32 v85, v77, v85
	s_waitcnt lgkmcnt(0)
	v_mul_f32_e32 v16, v67, v22
	v_fmac_f32_e32 v85, v23, v84
	v_fma_f32 v84, v104, v21, -v16
	v_mul_lo_u16_sdwa v16, v94, s2 dst_sel:DWORD dst_unused:UNUSED_PAD src0_sel:BYTE_0 src1_sel:DWORD
	v_lshrrev_b16_e32 v17, 11, v16
	v_mul_lo_u16_e32 v16, 10, v17
	v_sub_u16_e32 v31, v94, v16
	v_mul_u32_u24_sdwa v16, v31, v71 dst_sel:DWORD dst_unused:UNUSED_PAD src0_sel:BYTE_0 src1_sel:DWORD
	v_mul_f32_e32 v104, v104, v22
	v_lshlrev_b32_e32 v16, 3, v16
	v_fmac_f32_e32 v104, v67, v21
	global_load_dwordx4 v[20:23], v16, s[8:9] offset:16
	global_load_dwordx2 v[71:72], v16, s[8:9] offset:48
	global_load_dwordx4 v[74:77], v16, s[8:9] offset:32
	global_load_dwordx4 v[78:81], v16, s[8:9]
	v_sub_f32_e32 v35, v47, v61
	v_fma_f32 v41, v47, 2.0, -v35
	v_cmp_lt_u32_e64 s[2:3], 9, v91
	s_waitcnt lgkmcnt(0)
	; wave barrier
	s_waitcnt vmcnt(0)
	v_mul_f32_e32 v16, v5, v79
	v_fma_f32 v112, v1, v78, -v16
	v_mul_f32_e32 v113, v1, v79
	v_mul_f32_e32 v1, v6, v81
	v_fma_f32 v16, v2, v80, -v1
	v_mul_f32_e32 v1, v7, v21
	v_fmac_f32_e32 v113, v5, v78
	v_fma_f32 v78, v3, v20, -v1
	v_mul_f32_e32 v1, v34, v75
	v_mul_f32_e32 v67, v2, v81
	v_fma_f32 v79, v27, v74, -v1
	v_mul_f32_e32 v1, v40, v77
	v_fmac_f32_e32 v67, v6, v80
	v_mul_f32_e32 v80, v3, v21
	v_fma_f32 v21, v73, v76, -v1
	v_mul_f32_e32 v77, v73, v77
	v_mul_f32_e32 v1, v53, v72
	v_sub_f32_e32 v5, v97, v60
	v_sub_f32_e32 v2, v39, v66
	v_fmac_f32_e32 v80, v7, v20
	v_mul_f32_e32 v81, v27, v75
	v_fmac_f32_e32 v77, v40, v76
	v_fma_f32 v114, v98, v71, -v1
	v_mul_f32_e32 v98, v98, v72
	v_sub_f32_e32 v1, v58, v65
	v_sub_f32_e32 v20, v55, v45
	;; [unrolled: 1-line block ×4, first 2 shown]
	v_fmac_f32_e32 v81, v34, v74
	v_fmac_f32_e32 v98, v53, v71
	v_fma_f32 v6, v97, 2.0, -v5
	v_fma_f32 v7, v58, 2.0, -v1
	v_sub_f32_e32 v27, v56, v59
	v_fma_f32 v34, v55, 2.0, -v20
	v_fma_f32 v44, v57, 2.0, -v40
	;; [unrolled: 1-line block ×3, first 2 shown]
	v_sub_f32_e32 v40, v20, v40
	v_mov_b32_e32 v120, v47
	v_fma_f32 v3, v56, 2.0, -v27
	v_sub_f32_e32 v45, v6, v7
	v_sub_f32_e32 v5, v34, v41
	v_add_f32_e32 v35, v27, v35
	v_fma_f32 v41, v20, 2.0, -v40
	v_mov_b32_e32 v116, v53
	v_fmac_f32_e32 v120, 0x3f3504f3, v40
	v_fma_f32 v7, v6, 2.0, -v45
	v_sub_f32_e32 v6, v3, v44
	v_fma_f32 v34, v34, 2.0, -v5
	v_fma_f32 v27, v27, 2.0, -v35
	v_fmac_f32_e32 v116, 0xbf3504f3, v41
	v_fmac_f32_e32 v120, 0xbf3504f3, v35
	v_sub_f32_e32 v97, v7, v34
	v_mul_f32_e32 v20, 0x3f3504f3, v27
	v_fmac_f32_e32 v116, 0xbf3504f3, v27
	v_sub_f32_e32 v118, v45, v6
	v_mul_f32_e32 v27, 0x3f3504f3, v40
	v_mul_f32_e32 v34, 0x3f3504f3, v35
	v_fma_f32 v121, v47, 2.0, -v120
	v_sub_f32_e32 v44, v96, v46
	v_sub_f32_e32 v35, v48, v99
	;; [unrolled: 1-line block ×5, first 2 shown]
	v_fma_f32 v117, v53, 2.0, -v116
	v_fma_f32 v119, v45, 2.0, -v118
	;; [unrolled: 1-line block ×5, first 2 shown]
	v_sub_f32_e32 v56, v106, v108
	v_fma_f32 v57, v105, 2.0, -v55
	v_sub_f32_e32 v60, v44, v40
	v_sub_f32_e32 v48, v103, v100
	v_fma_f32 v58, v106, 2.0, -v56
	v_sub_f32_e32 v59, v45, v46
	v_fma_f32 v61, v44, 2.0, -v60
	v_sub_f32_e32 v44, v53, v57
	v_sub_f32_e32 v56, v47, v56
	v_fma_f32 v46, v45, 2.0, -v59
	v_fma_f32 v53, v53, 2.0, -v44
	v_add_f32_e32 v55, v48, v55
	v_fma_f32 v47, v47, 2.0, -v56
	v_mov_b32_e32 v100, v61
	v_mov_b32_e32 v105, v60
	v_fma_f32 v115, v7, 2.0, -v97
	v_mul_f32_e32 v7, 0x3f3504f3, v41
	v_fma_f32 v41, v103, 2.0, -v48
	v_fma_f32 v57, v48, 2.0, -v55
	v_sub_f32_e32 v96, v46, v53
	v_fmac_f32_e32 v100, 0xbf3504f3, v47
	v_fmac_f32_e32 v105, 0x3f3504f3, v56
	v_sub_f32_e32 v45, v41, v58
	v_fma_f32 v99, v46, 2.0, -v96
	v_mul_f32_e32 v46, 0x3f3504f3, v47
	v_fmac_f32_e32 v100, 0xbf3504f3, v57
	v_fmac_f32_e32 v105, 0xbf3504f3, v55
	v_sub_f32_e32 v47, v95, v110
	v_sub_f32_e32 v66, v12, v85
	v_mul_f32_e32 v48, 0x3f3504f3, v57
	v_fma_f32 v101, v61, 2.0, -v100
	v_sub_f32_e32 v102, v59, v45
	v_mul_f32_e32 v61, 0x3f3504f3, v56
	v_fma_f32 v106, v60, 2.0, -v105
	v_sub_f32_e32 v65, v86, v82
	v_sub_f32_e32 v56, v109, v111
	;; [unrolled: 1-line block ×5, first 2 shown]
	v_fma_f32 v103, v59, 2.0, -v102
	v_mul_f32_e32 v63, 0x3f3504f3, v55
	v_fma_f32 v53, v95, 2.0, -v47
	v_fma_f32 v55, v86, 2.0, -v65
	v_fma_f32 v69, v87, 2.0, -v57
	v_sub_f32_e32 v59, v88, v84
	v_fma_f32 v72, v89, 2.0, -v60
	v_fma_f32 v47, v47, 2.0, -v82
	v_sub_f32_e32 v60, v56, v60
	v_fma_f32 v58, v109, 2.0, -v56
	v_fma_f32 v71, v88, 2.0, -v59
	v_sub_f32_e32 v55, v53, v55
	v_sub_f32_e32 v72, v69, v72
	v_fma_f32 v56, v56, 2.0, -v60
	v_mov_b32_e32 v85, v47
	v_mov_b32_e32 v89, v82
	v_sub_f32_e32 v71, v58, v71
	v_add_f32_e32 v59, v57, v59
	v_mul_f32_e32 v73, 0x3f3504f3, v56
	v_fmac_f32_e32 v85, 0xbf3504f3, v56
	v_sub_f32_e32 v87, v55, v72
	v_mul_f32_e32 v75, 0x3f3504f3, v60
	v_fmac_f32_e32 v89, 0x3f3504f3, v60
	v_sub_f32_e32 v56, v112, v79
	v_sub_f32_e32 v60, v80, v98
	v_fma_f32 v53, v53, 2.0, -v55
	v_fma_f32 v58, v58, 2.0, -v71
	;; [unrolled: 1-line block ×4, first 2 shown]
	v_sub_f32_e32 v55, v67, v77
	v_sub_f32_e32 v77, v56, v60
	;; [unrolled: 1-line block ×3, first 2 shown]
	v_fmac_f32_e32 v85, 0xbf3504f3, v57
	v_mul_f32_e32 v76, 0x3f3504f3, v59
	v_fmac_f32_e32 v89, 0xbf3504f3, v59
	v_sub_f32_e32 v58, v113, v81
	v_fma_f32 v79, v112, 2.0, -v56
	v_sub_f32_e32 v59, v78, v114
	v_fma_f32 v56, v56, 2.0, -v77
	v_fma_f32 v86, v47, 2.0, -v85
	;; [unrolled: 1-line block ×3, first 2 shown]
	v_add_f32_e32 v78, v58, v59
	v_mul_f32_e32 v59, 0x3f3504f3, v56
	v_mul_f32_e32 v56, 0x3f3504f3, v77
	v_mov_b32_e32 v77, 0x50
	v_cndmask_b32_e64 v77, 0, v77, s[2:3]
	v_or_b32_e32 v52, v77, v52
	v_add3_u32 v77, 0, v9, v68
	v_mul_u32_u24_e32 v9, 0x50, v13
	v_or_b32_sdwa v9, v9, v43 dst_sel:DWORD dst_unused:UNUSED_PAD src0_sel:DWORD src1_sel:BYTE_0
	v_fma_f32 v84, v53, 2.0, -v83
	v_mul_f32_e32 v74, 0x3f3504f3, v57
	v_fma_f32 v53, v113, 2.0, -v58
	v_fma_f32 v57, v80, 2.0, -v60
	;; [unrolled: 1-line block ×3, first 2 shown]
	v_lshlrev_b32_e32 v52, 2, v52
	v_lshlrev_b32_e32 v9, 2, v9
	v_sub_f32_e32 v21, v16, v21
	v_sub_f32_e32 v47, v79, v47
	;; [unrolled: 1-line block ×3, first 2 shown]
	v_mul_f32_e32 v60, 0x3f3504f3, v58
	v_mul_f32_e32 v58, 0x3f3504f3, v78
	v_add3_u32 v52, 0, v52, v68
	v_add3_u32 v78, 0, v9, v68
	v_fma_f32 v82, v82, 2.0, -v89
	ds_write2_b32 v52, v115, v117 offset1:10
	ds_write2_b32 v52, v119, v121 offset0:20 offset1:30
	ds_write2_b32 v52, v97, v116 offset0:40 offset1:50
	ds_write2_b32 v52, v118, v120 offset0:60 offset1:70
	ds_write2_b32 v77, v99, v101 offset1:10
	ds_write2_b32 v77, v103, v106 offset0:20 offset1:30
	ds_write2_b32 v77, v96, v100 offset0:40 offset1:50
	ds_write2_b32 v77, v102, v105 offset0:60 offset1:70
	;; [unrolled: 4-line block ×3, first 2 shown]
	s_and_saveexec_b64 s[2:3], s[0:1]
	s_cbranch_execz .LBB0_19
; %bb.18:
	v_mul_f32_e32 v9, v33, v23
	v_fma_f32 v9, v26, v22, -v9
	v_sub_f32_e32 v9, v0, v9
	v_fma_f32 v0, v0, 2.0, -v9
	v_fma_f32 v16, v16, 2.0, -v21
	v_sub_f32_e32 v13, v9, v55
	v_sub_f32_e32 v16, v0, v16
	v_add_f32_e32 v42, v13, v56
	v_sub_f32_e32 v80, v16, v57
	v_sub_f32_e32 v42, v42, v58
	v_fma_f32 v81, v16, 2.0, -v80
	v_fma_f32 v9, v9, 2.0, -v13
	;; [unrolled: 1-line block ×4, first 2 shown]
	v_mul_u32_u24_e32 v79, 0x50, v17
	v_fma_f32 v43, v13, 2.0, -v42
	v_sub_f32_e32 v13, v9, v59
	v_or_b32_sdwa v79, v79, v31 dst_sel:DWORD dst_unused:UNUSED_PAD src0_sel:DWORD src1_sel:BYTE_0
	v_sub_f32_e32 v13, v13, v60
	v_sub_f32_e32 v16, v0, v16
	v_lshlrev_b32_e32 v79, 2, v79
	v_fma_f32 v9, v9, 2.0, -v13
	v_fma_f32 v0, v0, 2.0, -v16
	v_add3_u32 v79, 0, v79, v68
	ds_write2_b32 v79, v0, v9 offset1:10
	ds_write2_b32 v79, v81, v43 offset0:20 offset1:30
	ds_write2_b32 v79, v16, v13 offset0:40 offset1:50
	;; [unrolled: 1-line block ×3, first 2 shown]
.LBB0_19:
	s_or_b64 exec, exec, s[2:3]
	v_mul_f32_e32 v0, v32, v11
	v_fmac_f32_e32 v0, v36, v10
	v_sub_f32_e32 v0, v51, v0
	v_fma_f32 v11, v51, 2.0, -v0
	v_fma_f32 v2, v39, 2.0, -v2
	v_sub_f32_e32 v2, v11, v2
	v_add_f32_e32 v1, v0, v1
	v_mul_f32_e32 v10, v29, v19
	v_fma_f32 v11, v11, 2.0, -v2
	v_fma_f32 v0, v0, 2.0, -v1
	;; [unrolled: 1-line block ×3, first 2 shown]
	v_fmac_f32_e32 v10, v38, v18
	v_sub_f32_e32 v18, v11, v3
	v_sub_f32_e32 v3, v0, v20
	v_mul_f32_e32 v9, v28, v15
	v_add_f32_e32 v20, v7, v3
	v_fmac_f32_e32 v9, v37, v14
	v_fma_f32 v28, v0, 2.0, -v20
	v_add_f32_e32 v0, v1, v34
	v_add_f32_e32 v29, v2, v5
	;; [unrolled: 1-line block ×3, first 2 shown]
	v_sub_f32_e32 v0, v49, v9
	v_fma_f32 v32, v2, 2.0, -v29
	v_fma_f32 v51, v1, 2.0, -v27
	;; [unrolled: 1-line block ×4, first 2 shown]
	v_sub_f32_e32 v2, v1, v2
	v_fma_f32 v1, v1, 2.0, -v2
	v_add_f32_e32 v3, v0, v35
	v_fma_f32 v5, v41, 2.0, -v45
	v_fma_f32 v0, v0, 2.0, -v3
	v_sub_f32_e32 v79, v1, v5
	v_fma_f32 v80, v1, 2.0, -v79
	v_sub_f32_e32 v1, v0, v48
	v_add_f32_e32 v81, v46, v1
	v_fma_f32 v82, v0, 2.0, -v81
	v_add_f32_e32 v0, v3, v63
	v_add_f32_e32 v83, v2, v44
	;; [unrolled: 1-line block ×3, first 2 shown]
	v_sub_f32_e32 v0, v30, v10
	v_fma_f32 v84, v2, 2.0, -v83
	v_fma_f32 v1, v30, 2.0, -v0
	;; [unrolled: 1-line block ×3, first 2 shown]
	v_sub_f32_e32 v2, v1, v2
	v_fma_f32 v63, v3, 2.0, -v61
	v_fma_f32 v1, v1, 2.0, -v2
	v_add_f32_e32 v3, v0, v65
	v_fma_f32 v5, v69, 2.0, -v72
	v_fma_f32 v0, v0, 2.0, -v3
	v_sub_f32_e32 v30, v1, v5
	v_fma_f32 v65, v1, 2.0, -v30
	v_sub_f32_e32 v1, v0, v74
	v_add_f32_e32 v66, v73, v1
	v_fma_f32 v69, v0, 2.0, -v66
	v_add_f32_e32 v0, v3, v76
	v_add_f32_e32 v71, v2, v71
	;; [unrolled: 1-line block ×3, first 2 shown]
	v_add_u32_e32 v41, 0x400, v54
	v_fma_f32 v19, v11, 2.0, -v18
	v_fma_f32 v72, v2, 2.0, -v71
	;; [unrolled: 1-line block ×3, first 2 shown]
	s_waitcnt lgkmcnt(0)
	; wave barrier
	s_waitcnt lgkmcnt(0)
	ds_read2_b32 v[0:1], v54 offset0:64 offset1:80
	ds_read2_b32 v[7:8], v54 offset0:160 offset1:176
	;; [unrolled: 1-line block ×6, first 2 shown]
	ds_read2_b32 v[15:16], v41 offset1:16
	ds_read2_b32 v[13:14], v41 offset0:160 offset1:176
	ds_read2_b32 v[37:38], v54 offset0:192 offset1:208
	;; [unrolled: 1-line block ×3, first 2 shown]
	v_add3_u32 v36, 0, v70, v68
	ds_read_b32 v45, v50
	ds_read_b32 v46, v62
	;; [unrolled: 1-line block ×4, first 2 shown]
	ds_read2_b32 v[39:40], v54 offset0:128 offset1:144
	ds_read2_b32 v[43:44], v41 offset0:32 offset1:48
	;; [unrolled: 1-line block ×3, first 2 shown]
	s_waitcnt lgkmcnt(0)
	; wave barrier
	s_waitcnt lgkmcnt(0)
	ds_write2_b32 v52, v19, v28 offset1:10
	ds_write2_b32 v52, v32, v51 offset0:20 offset1:30
	ds_write2_b32 v52, v18, v20 offset0:40 offset1:50
	ds_write2_b32 v52, v29, v27 offset0:60 offset1:70
	ds_write2_b32 v77, v80, v82 offset1:10
	ds_write2_b32 v77, v84, v63 offset0:20 offset1:30
	ds_write2_b32 v77, v79, v81 offset0:40 offset1:50
	ds_write2_b32 v77, v83, v61 offset0:60 offset1:70
	;; [unrolled: 4-line block ×3, first 2 shown]
	s_and_saveexec_b64 s[2:3], s[0:1]
	s_cbranch_execz .LBB0_21
; %bb.20:
	v_mul_f32_e32 v18, v26, v23
	v_fmac_f32_e32 v18, v33, v22
	v_sub_f32_e32 v18, v4, v18
	v_fma_f32 v4, v4, 2.0, -v18
	v_fma_f32 v19, v67, 2.0, -v55
	v_add_f32_e32 v20, v18, v21
	v_sub_f32_e32 v19, v4, v19
	v_fma_f32 v18, v18, 2.0, -v20
	v_mul_u32_u24_e32 v17, 0x50, v17
	v_fma_f32 v4, v4, 2.0, -v19
	v_fma_f32 v21, v53, 2.0, -v57
	v_sub_f32_e32 v22, v18, v60
	v_or_b32_sdwa v17, v17, v31 dst_sel:DWORD dst_unused:UNUSED_PAD src0_sel:DWORD src1_sel:BYTE_0
	v_sub_f32_e32 v21, v4, v21
	v_add_f32_e32 v22, v59, v22
	v_add_f32_e32 v26, v20, v58
	v_lshlrev_b32_e32 v17, 2, v17
	v_fma_f32 v4, v4, 2.0, -v21
	v_fma_f32 v18, v18, 2.0, -v22
	v_add_f32_e32 v23, v19, v47
	v_add_f32_e32 v26, v56, v26
	v_add3_u32 v17, 0, v17, v68
	v_fma_f32 v19, v19, 2.0, -v23
	v_fma_f32 v20, v20, 2.0, -v26
	ds_write2_b32 v17, v4, v18 offset1:10
	ds_write2_b32 v17, v19, v20 offset0:20 offset1:30
	ds_write2_b32 v17, v21, v22 offset0:40 offset1:50
	;; [unrolled: 1-line block ×3, first 2 shown]
.LBB0_21:
	s_or_b64 exec, exec, s[2:3]
	s_waitcnt lgkmcnt(0)
	; wave barrier
	s_waitcnt lgkmcnt(0)
	s_and_saveexec_b64 s[0:1], vcc
	s_cbranch_execz .LBB0_23
; %bb.22:
	v_or_b32_e32 v4, 64, v91
	v_mul_u32_u24_e32 v4, 5, v4
	v_lshlrev_b32_e32 v4, 3, v4
	global_load_dwordx4 v[26:29], v4, s[8:9] offset:560
	global_load_dwordx4 v[30:33], v4, s[8:9] offset:576
	global_load_dwordx2 v[51:52], v4, s[8:9] offset:592
	v_mul_i32_i24_e32 v77, 5, v94
	v_mov_b32_e32 v78, 0
	v_lshlrev_b64 v[55:56], 3, v[77:78]
	v_mov_b32_e32 v63, s9
	v_add_co_u32_e32 v69, vcc, s8, v55
	v_add_u32_e32 v47, 0x400, v54
	v_addc_co_u32_e32 v70, vcc, v63, v56, vcc
	ds_read2_b32 v[19:20], v54 offset0:224 offset1:240
	ds_read2_b32 v[17:18], v54 offset0:64 offset1:80
	ds_read2_b32 v[59:60], v54 offset0:128 offset1:144
	ds_read2_b32 v[22:23], v47 offset0:128 offset1:144
	ds_read2_b32 v[79:80], v47 offset0:32 offset1:48
	ds_read2_b32 v[81:82], v47 offset0:192 offset1:208
	global_load_dwordx2 v[83:84], v[69:70], off offset:592
	global_load_dwordx4 v[55:58], v[69:70], off offset:576
	global_load_dwordx4 v[65:68], v[69:70], off offset:560
	v_mul_i32_i24_e32 v77, 5, v93
	s_waitcnt vmcnt(5) lgkmcnt(5)
	v_mul_f32_e32 v4, v29, v19
	s_waitcnt vmcnt(4) lgkmcnt(2)
	v_mul_f32_e32 v21, v33, v22
	v_mul_f32_e32 v19, v28, v19
	;; [unrolled: 1-line block ×3, first 2 shown]
	s_waitcnt lgkmcnt(1)
	v_mul_f32_e32 v70, v30, v80
	s_waitcnt vmcnt(3) lgkmcnt(0)
	v_mul_f32_e32 v71, v51, v82
	v_mul_f32_e32 v53, v27, v60
	v_mul_f32_e32 v60, v26, v60
	v_fmac_f32_e32 v19, v2, v29
	v_fmac_f32_e32 v22, v5, v33
	;; [unrolled: 1-line block ×4, first 2 shown]
	v_mul_f32_e32 v61, v31, v80
	v_mul_f32_e32 v69, v52, v82
	v_fma_f32 v4, v2, v28, -v4
	v_fma_f32 v21, v5, v32, -v21
	v_fmac_f32_e32 v60, v40, v27
	v_add_f32_e32 v28, v19, v22
	v_add_f32_e32 v32, v70, v71
	v_fma_f32 v2, v40, v26, -v53
	v_fma_f32 v5, v44, v30, -v61
	;; [unrolled: 1-line block ×3, first 2 shown]
	v_add_f32_e32 v33, v19, v17
	v_add_f32_e32 v40, v60, v70
	v_fma_f32 v17, -0.5, v28, v17
	v_fma_f32 v28, -0.5, v32, v60
	v_lshlrev_b64 v[60:61], 3, v[77:78]
	v_add_f32_e32 v29, v5, v26
	v_sub_f32_e32 v31, v5, v26
	v_add_f32_e32 v42, v4, v21
	v_add_f32_e32 v5, v2, v5
	ds_read2_b32 v[51:52], v54 offset0:192 offset1:208
	v_sub_f32_e32 v27, v4, v21
	v_sub_f32_e32 v30, v70, v71
	v_add_f32_e32 v4, v0, v4
	v_fma_f32 v2, -0.5, v29, v2
	v_fma_f32 v0, -0.5, v42, v0
	v_add_f32_e32 v42, v5, v26
	v_mov_b32_e32 v26, v28
	v_add_co_u32_e32 v60, vcc, s8, v60
	v_sub_f32_e32 v19, v19, v22
	v_add_f32_e32 v32, v22, v33
	v_add_f32_e32 v33, v40, v71
	;; [unrolled: 1-line block ×3, first 2 shown]
	v_mov_b32_e32 v29, v17
	v_mov_b32_e32 v21, v2
	v_fmac_f32_e32 v28, 0xbf5db3d7, v31
	v_fmac_f32_e32 v2, 0x3f5db3d7, v30
	v_mov_b32_e32 v44, v0
	v_fmac_f32_e32 v26, 0x3f5db3d7, v31
	v_addc_co_u32_e32 v61, vcc, v63, v61, vcc
	v_fmac_f32_e32 v17, 0xbf5db3d7, v27
	v_fmac_f32_e32 v0, 0x3f5db3d7, v19
	;; [unrolled: 1-line block ×4, first 2 shown]
	v_mul_f32_e32 v27, 0xbf5db3d7, v2
	v_fmac_f32_e32 v44, 0xbf5db3d7, v19
	v_mul_f32_e32 v19, 0x3f5db3d7, v28
	v_mul_f32_e32 v30, -0.5, v26
	global_load_dwordx4 v[69:72], v[60:61], off offset:576
	global_load_dwordx4 v[73:76], v[60:61], off offset:560
	ds_read2_b32 v[85:86], v47 offset0:96 offset1:112
	v_fmac_f32_e32 v27, 0.5, v28
	v_fmac_f32_e32 v19, 0.5, v2
	v_fmac_f32_e32 v30, 0xbf5db3d7, v21
	v_mul_f32_e32 v28, -0.5, v21
	v_sub_f32_e32 v22, v17, v27
	v_sub_f32_e32 v21, v0, v19
	v_add_f32_e32 v31, v17, v27
	v_sub_f32_e32 v27, v29, v30
	v_add_f32_e32 v29, v29, v30
	v_add_f32_e32 v30, v0, v19
	s_waitcnt vmcnt(2) lgkmcnt(1)
	v_mul_f32_e32 v0, v52, v68
	v_fma_f32 v0, v38, v67, -v0
	v_mul_f32_e32 v19, v38, v68
	ds_read_b32 v38, v36
	v_sub_f32_e32 v5, v32, v33
	v_sub_f32_e32 v4, v40, v42
	v_add_f32_e32 v33, v32, v33
	v_add_f32_e32 v32, v40, v42
	s_waitcnt lgkmcnt(1)
	v_mul_f32_e32 v40, v57, v86
	v_mul_f32_e32 v2, v58, v86
	v_fmac_f32_e32 v19, v67, v52
	v_fmac_f32_e32 v40, v35, v58
	;; [unrolled: 1-line block ×3, first 2 shown]
	v_fma_f32 v2, v35, v57, -v2
	v_add_f32_e32 v35, v19, v40
	v_sub_f32_e32 v26, v44, v28
	v_add_f32_e32 v28, v44, v28
	ds_read_b32 v44, v64
	s_waitcnt lgkmcnt(1)
	v_fma_f32 v52, -0.5, v35, v38
	v_mul_f32_e32 v35, v59, v66
	v_fma_f32 v57, v39, v65, -v35
	v_mul_f32_e32 v35, v79, v56
	v_fma_f32 v58, v43, v55, -v35
	;; [unrolled: 2-line block ×3, first 2 shown]
	v_add_f32_e32 v35, v58, v64
	v_fma_f32 v67, -0.5, v35, v57
	v_mul_f32_e32 v35, v43, v56
	global_load_dwordx2 v[42:43], v[60:61], off offset:592
	v_fmac_f32_e32 v35, v55, v79
	v_mul_f32_e32 v55, v83, v81
	v_fmac_f32_e32 v55, v41, v84
	v_mul_f32_e32 v61, v39, v66
	v_fmac_f32_e32 v61, v65, v59
	v_add_f32_e32 v36, v35, v55
	v_fma_f32 v59, -0.5, v36, v61
	v_sub_f32_e32 v41, v35, v55
	v_sub_f32_e32 v60, v58, v64
	v_mov_b32_e32 v65, v59
	v_add_f32_e32 v35, v61, v35
	v_mov_b32_e32 v56, v67
	v_fmac_f32_e32 v65, 0x3f5db3d7, v60
	v_add_f32_e32 v55, v35, v55
	v_add_f32_e32 v35, v0, v2
	v_sub_f32_e32 v17, v0, v2
	v_mov_b32_e32 v53, v52
	v_fmac_f32_e32 v56, 0xbf5db3d7, v41
	v_mul_f32_e32 v66, -0.5, v65
	v_fmac_f32_e32 v67, 0x3f5db3d7, v41
	v_fma_f32 v61, -0.5, v35, v49
	v_fmac_f32_e32 v53, 0x3f5db3d7, v17
	v_fmac_f32_e32 v66, 0xbf5db3d7, v56
	;; [unrolled: 1-line block ×4, first 2 shown]
	v_mul_f32_e32 v17, 0xbf5db3d7, v67
	v_add_f32_e32 v38, v19, v38
	v_sub_f32_e32 v19, v19, v40
	v_mov_b32_e32 v68, v61
	v_mul_f32_e32 v56, -0.5, v56
	v_fmac_f32_e32 v17, 0.5, v59
	v_add_f32_e32 v60, v40, v38
	v_fmac_f32_e32 v68, 0xbf5db3d7, v19
	v_fmac_f32_e32 v56, 0x3f5db3d7, v65
	v_mul_i32_i24_e32 v77, 5, v92
	v_sub_f32_e32 v39, v52, v17
	v_sub_f32_e32 v41, v60, v55
	;; [unrolled: 1-line block ×3, first 2 shown]
	v_add_f32_e32 v80, v52, v17
	v_add_f32_e32 v82, v60, v55
	;; [unrolled: 1-line block ×3, first 2 shown]
	v_lshlrev_b64 v[55:56], 3, v[77:78]
	v_fmac_f32_e32 v61, 0x3f5db3d7, v19
	v_mul_f32_e32 v19, 0x3f5db3d7, v59
	v_add_f32_e32 v0, v49, v0
	v_add_co_u32_e32 v59, vcc, s8, v55
	v_add_f32_e32 v0, v0, v2
	v_add_f32_e32 v2, v57, v58
	v_addc_co_u32_e32 v60, vcc, v63, v56, vcc
	v_sub_f32_e32 v36, v53, v66
	v_add_f32_e32 v2, v2, v64
	v_add_f32_e32 v53, v53, v66
	global_load_dwordx4 v[55:58], v[59:60], off offset:560
	global_load_dwordx2 v[77:78], v[59:60], off offset:592
	global_load_dwordx4 v[63:66], v[59:60], off offset:576
	v_sub_f32_e32 v40, v0, v2
	v_add_f32_e32 v81, v0, v2
	s_waitcnt vmcnt(5)
	v_mul_f32_e32 v2, v85, v72
	s_waitcnt vmcnt(4)
	v_mul_f32_e32 v0, v51, v76
	v_fma_f32 v2, v34, v71, -v2
	v_mul_f32_e32 v34, v34, v72
	v_fma_f32 v0, v37, v75, -v0
	v_mul_f32_e32 v37, v37, v76
	v_fmac_f32_e32 v34, v71, v85
	ds_read2_b32 v[71:72], v54 offset0:96 offset1:112
	v_fmac_f32_e32 v37, v75, v51
	ds_read2_b32 v[75:76], v47 offset1:16
	ds_read2_b32 v[83:84], v47 offset0:160 offset1:176
	v_add_f32_e32 v17, v37, v34
	v_fmac_f32_e32 v19, 0.5, v67
	s_waitcnt lgkmcnt(3)
	v_fma_f32 v59, -0.5, v17, v44
	s_waitcnt lgkmcnt(2)
	v_mul_f32_e32 v17, v72, v74
	v_sub_f32_e32 v38, v61, v19
	v_add_f32_e32 v79, v61, v19
	v_fma_f32 v61, v12, v73, -v17
	s_waitcnt lgkmcnt(1)
	v_mul_f32_e32 v17, v76, v70
	ds_read_b32 v51, v62
	v_fma_f32 v62, v16, v69, -v17
	v_mul_f32_e32 v16, v16, v70
	s_waitcnt vmcnt(3) lgkmcnt(1)
	v_mul_f32_e32 v17, v84, v43
	v_fma_f32 v67, v14, v42, -v17
	v_mul_f32_e32 v14, v14, v43
	v_add_f32_e32 v17, v62, v67
	v_fmac_f32_e32 v16, v69, v76
	v_fmac_f32_e32 v14, v42, v84
	v_mul_f32_e32 v12, v12, v74
	v_fma_f32 v68, -0.5, v17, v61
	v_fmac_f32_e32 v12, v73, v72
	v_add_f32_e32 v17, v16, v14
	v_sub_f32_e32 v42, v16, v14
	v_mov_b32_e32 v69, v68
	v_fma_f32 v70, -0.5, v17, v12
	v_add_f32_e32 v12, v12, v16
	v_fmac_f32_e32 v69, 0xbf5db3d7, v42
	v_sub_f32_e32 v43, v62, v67
	v_mov_b32_e32 v72, v70
	v_fmac_f32_e32 v68, 0x3f5db3d7, v42
	v_add_f32_e32 v42, v37, v44
	v_add_f32_e32 v12, v12, v14
	;; [unrolled: 1-line block ×3, first 2 shown]
	v_sub_f32_e32 v19, v0, v2
	v_mov_b32_e32 v60, v59
	v_fmac_f32_e32 v72, 0x3f5db3d7, v43
	v_add_f32_e32 v44, v34, v42
	v_fma_f32 v14, -0.5, v14, v48
	v_fmac_f32_e32 v60, 0x3f5db3d7, v19
	v_mul_f32_e32 v73, -0.5, v72
	v_fmac_f32_e32 v59, 0xbf5db3d7, v19
	v_fmac_f32_e32 v70, 0xbf5db3d7, v43
	v_mul_f32_e32 v19, 0xbf5db3d7, v68
	v_sub_f32_e32 v49, v44, v12
	v_sub_f32_e32 v34, v37, v34
	v_mov_b32_e32 v37, v14
	v_add_f32_e32 v0, v48, v0
	v_add_f32_e32 v87, v44, v12
	v_mul_u32_u24_e32 v12, 5, v91
	v_fmac_f32_e32 v73, 0xbf5db3d7, v69
	v_fmac_f32_e32 v19, 0.5, v70
	v_fmac_f32_e32 v37, 0xbf5db3d7, v34
	v_fmac_f32_e32 v14, 0x3f5db3d7, v34
	v_mul_f32_e32 v34, 0x3f5db3d7, v70
	v_add_f32_e32 v0, v0, v2
	v_add_f32_e32 v2, v61, v62
	v_lshlrev_b32_e32 v12, 3, v12
	v_sub_f32_e32 v17, v60, v73
	v_sub_f32_e32 v43, v59, v19
	v_mul_f32_e32 v74, -0.5, v69
	v_fmac_f32_e32 v34, 0.5, v68
	v_add_f32_e32 v2, v2, v67
	v_add_f32_e32 v73, v60, v73
	;; [unrolled: 1-line block ×3, first 2 shown]
	global_load_dwordx4 v[59:62], v12, s[8:9] offset:576
	global_load_dwordx4 v[67:70], v12, s[8:9] offset:560
	ds_read2_b32 v[88:89], v54 offset0:160 offset1:176
	v_sub_f32_e32 v48, v0, v2
	v_add_f32_e32 v86, v0, v2
	ds_read2_b32 v[91:92], v47 offset0:64 offset1:80
	v_fmac_f32_e32 v74, 0x3f5db3d7, v72
	s_waitcnt vmcnt(4) lgkmcnt(1)
	v_mul_f32_e32 v0, v89, v58
	v_fma_f32 v0, v8, v57, -v0
	v_mul_f32_e32 v8, v8, v58
	v_fmac_f32_e32 v8, v57, v89
	global_load_dwordx2 v[57:58], v12, s[8:9] offset:592
	s_waitcnt vmcnt(3) lgkmcnt(0)
	v_mul_f32_e32 v2, v92, v66
	v_fma_f32 v2, v10, v65, -v2
	v_mul_f32_e32 v10, v10, v66
	v_fmac_f32_e32 v10, v65, v92
	v_add_f32_e32 v19, v8, v10
	v_mul_f32_e32 v12, v71, v56
	v_fma_f32 v19, -0.5, v19, v51
	v_fma_f32 v44, v11, v55, -v12
	v_mul_f32_e32 v12, v75, v64
	v_sub_f32_e32 v16, v37, v74
	v_sub_f32_e32 v42, v14, v34
	v_add_f32_e32 v72, v37, v74
	v_add_f32_e32 v84, v14, v34
	v_sub_f32_e32 v14, v0, v2
	v_mov_b32_e32 v37, v19
	v_fma_f32 v47, v15, v63, -v12
	v_mul_f32_e32 v15, v15, v64
	v_mul_f32_e32 v56, v11, v56
	v_fmac_f32_e32 v37, 0x3f5db3d7, v14
	v_mul_f32_e32 v12, v83, v78
	v_fmac_f32_e32 v15, v63, v75
	;; [unrolled: 2-line block ×3, first 2 shown]
	v_fmac_f32_e32 v19, 0xbf5db3d7, v14
	v_add_f32_e32 v14, v8, v51
	ds_read_b32 v34, v50
	v_fma_f32 v50, v13, v77, -v12
	v_fmac_f32_e32 v54, v77, v83
	v_add_f32_e32 v71, v10, v14
	v_add_f32_e32 v14, v56, v15
	;; [unrolled: 1-line block ×3, first 2 shown]
	v_sub_f32_e32 v13, v15, v54
	v_add_f32_e32 v11, v15, v54
	v_add_f32_e32 v54, v14, v54
	;; [unrolled: 1-line block ×3, first 2 shown]
	v_fma_f32 v12, -0.5, v12, v44
	v_sub_f32_e32 v64, v47, v50
	v_fma_f32 v55, -0.5, v11, v56
	v_fma_f32 v56, -0.5, v14, v46
	v_add_f32_e32 v0, v46, v0
	v_mov_b32_e32 v63, v12
	v_mov_b32_e32 v65, v55
	v_fmac_f32_e32 v55, 0xbf5db3d7, v64
	v_fmac_f32_e32 v12, 0x3f5db3d7, v13
	v_sub_f32_e32 v8, v8, v10
	v_mov_b32_e32 v74, v56
	v_add_f32_e32 v0, v0, v2
	v_add_f32_e32 v2, v44, v47
	v_fmac_f32_e32 v65, 0x3f5db3d7, v64
	v_mul_f32_e32 v64, 0xbf5db3d7, v12
	v_fmac_f32_e32 v74, 0xbf5db3d7, v8
	v_fmac_f32_e32 v56, 0x3f5db3d7, v8
	v_mul_f32_e32 v8, 0x3f5db3d7, v55
	v_add_f32_e32 v2, v2, v50
	v_fmac_f32_e32 v64, 0.5, v55
	v_sub_f32_e32 v15, v71, v54
	v_fmac_f32_e32 v8, 0.5, v12
	v_sub_f32_e32 v14, v0, v2
	v_add_f32_e32 v55, v71, v54
	v_add_f32_e32 v54, v0, v2
	v_sub_f32_e32 v12, v56, v8
	v_add_f32_e32 v50, v56, v8
	v_fmac_f32_e32 v63, 0xbf5db3d7, v13
	v_sub_f32_e32 v13, v19, v64
	v_add_f32_e32 v51, v19, v64
	v_mul_f32_e32 v66, -0.5, v65
	v_fmac_f32_e32 v66, 0xbf5db3d7, v63
	v_sub_f32_e32 v11, v37, v66
	v_add_f32_e32 v47, v37, v66
	s_waitcnt vmcnt(1)
	v_mul_f32_e32 v0, v88, v70
	v_fma_f32 v8, v7, v69, -v0
	v_mul_f32_e32 v0, v91, v62
	v_fma_f32 v19, v9, v61, -v0
	v_mul_f32_e32 v2, v7, v70
	v_mul_f32_e32 v9, v9, v62
	v_fmac_f32_e32 v2, v69, v88
	v_fmac_f32_e32 v9, v61, v91
	v_add_f32_e32 v7, v2, v9
	s_waitcnt lgkmcnt(0)
	v_fma_f32 v37, -0.5, v7, v34
	v_mul_f32_e32 v7, v18, v68
	v_fma_f32 v56, v1, v67, -v7
	v_mul_f32_e32 v7, v20, v60
	v_fma_f32 v61, v3, v59, -v7
	s_waitcnt vmcnt(0)
	v_mul_f32_e32 v7, v23, v58
	v_mul_f32_e32 v63, -0.5, v63
	v_fma_f32 v62, v6, v57, -v7
	v_fmac_f32_e32 v63, 0x3f5db3d7, v65
	v_add_f32_e32 v7, v61, v62
	v_sub_f32_e32 v10, v74, v63
	v_add_f32_e32 v46, v74, v63
	v_fma_f32 v63, -0.5, v7, v56
	v_mul_f32_e32 v7, v3, v60
	v_mul_f32_e32 v6, v6, v58
	v_fmac_f32_e32 v7, v59, v20
	v_fmac_f32_e32 v6, v57, v23
	v_mul_f32_e32 v57, v1, v68
	v_sub_f32_e32 v0, v8, v19
	v_mov_b32_e32 v44, v37
	v_fmac_f32_e32 v57, v67, v18
	v_add_f32_e32 v1, v7, v6
	v_fmac_f32_e32 v44, 0x3f5db3d7, v0
	v_fma_f32 v18, -0.5, v1, v57
	v_fmac_f32_e32 v37, 0xbf5db3d7, v0
	v_add_f32_e32 v0, v2, v34
	v_sub_f32_e32 v23, v61, v62
	v_mov_b32_e32 v58, v18
	v_add_f32_e32 v34, v9, v0
	v_add_f32_e32 v0, v57, v7
	v_sub_f32_e32 v3, v7, v6
	v_mov_b32_e32 v20, v63
	v_fmac_f32_e32 v58, 0x3f5db3d7, v23
	v_add_f32_e32 v57, v0, v6
	v_add_f32_e32 v0, v8, v19
	v_fmac_f32_e32 v20, 0xbf5db3d7, v3
	v_mul_f32_e32 v59, -0.5, v58
	v_fmac_f32_e32 v63, 0x3f5db3d7, v3
	v_fma_f32 v60, -0.5, v0, v45
	v_fmac_f32_e32 v59, 0xbf5db3d7, v20
	v_fmac_f32_e32 v18, 0xbf5db3d7, v23
	v_mul_f32_e32 v23, 0xbf5db3d7, v63
	v_sub_f32_e32 v2, v2, v9
	v_mov_b32_e32 v64, v60
	v_mul_f32_e32 v20, -0.5, v20
	v_fmac_f32_e32 v23, 0.5, v18
	v_fmac_f32_e32 v64, 0xbf5db3d7, v2
	v_fmac_f32_e32 v20, 0x3f5db3d7, v58
	v_add_f32_e32 v6, v45, v8
	v_sub_f32_e32 v3, v37, v23
	v_sub_f32_e32 v0, v64, v20
	v_add_f32_e32 v58, v6, v19
	v_add_f32_e32 v19, v37, v23
	;; [unrolled: 1-line block ×3, first 2 shown]
	v_mov_b32_e32 v20, s13
	v_add_co_u32_e32 v23, vcc, s12, v24
	v_add_f32_e32 v6, v56, v61
	v_addc_co_u32_e32 v20, vcc, v20, v25, vcc
	v_mul_f32_e32 v18, 0x3f5db3d7, v18
	v_add_f32_e32 v56, v6, v62
	v_add_co_u32_e32 v23, vcc, v23, v90
	v_sub_f32_e32 v1, v44, v59
	v_fmac_f32_e32 v60, 0x3f5db3d7, v2
	v_fmac_f32_e32 v18, 0.5, v63
	v_add_f32_e32 v9, v44, v59
	v_add_f32_e32 v45, v34, v57
	;; [unrolled: 1-line block ×3, first 2 shown]
	v_addc_co_u32_e32 v24, vcc, 0, v20, vcc
	v_sub_f32_e32 v7, v34, v57
	v_sub_f32_e32 v2, v60, v18
	v_sub_f32_e32 v6, v58, v56
	v_add_f32_e32 v18, v60, v18
	global_store_dwordx2 v[23:24], v[44:45], off
	global_store_dwordx2 v[23:24], v[18:19], off offset:640
	global_store_dwordx2 v[23:24], v[8:9], off offset:1280
	global_store_dwordx2 v[23:24], v[6:7], off offset:1920
	global_store_dwordx2 v[23:24], v[2:3], off offset:2560
	global_store_dwordx2 v[23:24], v[0:1], off offset:3200
	global_store_dwordx2 v[23:24], v[54:55], off offset:128
	global_store_dwordx2 v[23:24], v[50:51], off offset:768
	global_store_dwordx2 v[23:24], v[46:47], off offset:1408
	global_store_dwordx2 v[23:24], v[14:15], off offset:2048
	global_store_dwordx2 v[23:24], v[12:13], off offset:2688
	global_store_dwordx2 v[23:24], v[10:11], off offset:3328
	global_store_dwordx2 v[23:24], v[86:87], off offset:256
	global_store_dwordx2 v[23:24], v[84:85], off offset:896
	global_store_dwordx2 v[23:24], v[72:73], off offset:1536
	global_store_dwordx2 v[23:24], v[48:49], off offset:2176
	global_store_dwordx2 v[23:24], v[42:43], off offset:2816
	global_store_dwordx2 v[23:24], v[16:17], off offset:3456
	global_store_dwordx2 v[23:24], v[81:82], off offset:384
	global_store_dwordx2 v[23:24], v[79:80], off offset:1024
	global_store_dwordx2 v[23:24], v[52:53], off offset:1664
	global_store_dwordx2 v[23:24], v[40:41], off offset:2304
	global_store_dwordx2 v[23:24], v[38:39], off offset:2944
	global_store_dwordx2 v[23:24], v[35:36], off offset:3584
	global_store_dwordx2 v[23:24], v[32:33], off offset:512
	global_store_dwordx2 v[23:24], v[30:31], off offset:1152
	global_store_dwordx2 v[23:24], v[28:29], off offset:1792
	global_store_dwordx2 v[23:24], v[4:5], off offset:2432
	global_store_dwordx2 v[23:24], v[21:22], off offset:3072
	global_store_dwordx2 v[23:24], v[26:27], off offset:3712
.LBB0_23:
	s_endpgm
	.section	.rodata,"a",@progbits
	.p2align	6, 0x0
	.amdhsa_kernel fft_rtc_fwd_len480_factors_10_8_6_wgs_64_tpt_16_halfLds_sp_ip_CI_unitstride_sbrr_dirReg
		.amdhsa_group_segment_fixed_size 0
		.amdhsa_private_segment_fixed_size 0
		.amdhsa_kernarg_size 88
		.amdhsa_user_sgpr_count 6
		.amdhsa_user_sgpr_private_segment_buffer 1
		.amdhsa_user_sgpr_dispatch_ptr 0
		.amdhsa_user_sgpr_queue_ptr 0
		.amdhsa_user_sgpr_kernarg_segment_ptr 1
		.amdhsa_user_sgpr_dispatch_id 0
		.amdhsa_user_sgpr_flat_scratch_init 0
		.amdhsa_user_sgpr_private_segment_size 0
		.amdhsa_uses_dynamic_stack 0
		.amdhsa_system_sgpr_private_segment_wavefront_offset 0
		.amdhsa_system_sgpr_workgroup_id_x 1
		.amdhsa_system_sgpr_workgroup_id_y 0
		.amdhsa_system_sgpr_workgroup_id_z 0
		.amdhsa_system_sgpr_workgroup_info 0
		.amdhsa_system_vgpr_workitem_id 0
		.amdhsa_next_free_vgpr 122
		.amdhsa_next_free_sgpr 22
		.amdhsa_reserve_vcc 1
		.amdhsa_reserve_flat_scratch 0
		.amdhsa_float_round_mode_32 0
		.amdhsa_float_round_mode_16_64 0
		.amdhsa_float_denorm_mode_32 3
		.amdhsa_float_denorm_mode_16_64 3
		.amdhsa_dx10_clamp 1
		.amdhsa_ieee_mode 1
		.amdhsa_fp16_overflow 0
		.amdhsa_exception_fp_ieee_invalid_op 0
		.amdhsa_exception_fp_denorm_src 0
		.amdhsa_exception_fp_ieee_div_zero 0
		.amdhsa_exception_fp_ieee_overflow 0
		.amdhsa_exception_fp_ieee_underflow 0
		.amdhsa_exception_fp_ieee_inexact 0
		.amdhsa_exception_int_div_zero 0
	.end_amdhsa_kernel
	.text
.Lfunc_end0:
	.size	fft_rtc_fwd_len480_factors_10_8_6_wgs_64_tpt_16_halfLds_sp_ip_CI_unitstride_sbrr_dirReg, .Lfunc_end0-fft_rtc_fwd_len480_factors_10_8_6_wgs_64_tpt_16_halfLds_sp_ip_CI_unitstride_sbrr_dirReg
                                        ; -- End function
	.section	.AMDGPU.csdata,"",@progbits
; Kernel info:
; codeLenInByte = 10340
; NumSgprs: 26
; NumVgprs: 122
; ScratchSize: 0
; MemoryBound: 0
; FloatMode: 240
; IeeeMode: 1
; LDSByteSize: 0 bytes/workgroup (compile time only)
; SGPRBlocks: 3
; VGPRBlocks: 30
; NumSGPRsForWavesPerEU: 26
; NumVGPRsForWavesPerEU: 122
; Occupancy: 2
; WaveLimiterHint : 1
; COMPUTE_PGM_RSRC2:SCRATCH_EN: 0
; COMPUTE_PGM_RSRC2:USER_SGPR: 6
; COMPUTE_PGM_RSRC2:TRAP_HANDLER: 0
; COMPUTE_PGM_RSRC2:TGID_X_EN: 1
; COMPUTE_PGM_RSRC2:TGID_Y_EN: 0
; COMPUTE_PGM_RSRC2:TGID_Z_EN: 0
; COMPUTE_PGM_RSRC2:TIDIG_COMP_CNT: 0
	.type	__hip_cuid_4cf0f54c290d6a9a,@object ; @__hip_cuid_4cf0f54c290d6a9a
	.section	.bss,"aw",@nobits
	.globl	__hip_cuid_4cf0f54c290d6a9a
__hip_cuid_4cf0f54c290d6a9a:
	.byte	0                               ; 0x0
	.size	__hip_cuid_4cf0f54c290d6a9a, 1

	.ident	"AMD clang version 19.0.0git (https://github.com/RadeonOpenCompute/llvm-project roc-6.4.0 25133 c7fe45cf4b819c5991fe208aaa96edf142730f1d)"
	.section	".note.GNU-stack","",@progbits
	.addrsig
	.addrsig_sym __hip_cuid_4cf0f54c290d6a9a
	.amdgpu_metadata
---
amdhsa.kernels:
  - .args:
      - .actual_access:  read_only
        .address_space:  global
        .offset:         0
        .size:           8
        .value_kind:     global_buffer
      - .offset:         8
        .size:           8
        .value_kind:     by_value
      - .actual_access:  read_only
        .address_space:  global
        .offset:         16
        .size:           8
        .value_kind:     global_buffer
      - .actual_access:  read_only
        .address_space:  global
        .offset:         24
        .size:           8
        .value_kind:     global_buffer
      - .offset:         32
        .size:           8
        .value_kind:     by_value
      - .actual_access:  read_only
        .address_space:  global
        .offset:         40
        .size:           8
        .value_kind:     global_buffer
      - .actual_access:  read_only
        .address_space:  global
        .offset:         48
        .size:           8
        .value_kind:     global_buffer
      - .offset:         56
        .size:           4
        .value_kind:     by_value
      - .actual_access:  read_only
        .address_space:  global
        .offset:         64
        .size:           8
        .value_kind:     global_buffer
      - .actual_access:  read_only
        .address_space:  global
        .offset:         72
        .size:           8
        .value_kind:     global_buffer
      - .address_space:  global
        .offset:         80
        .size:           8
        .value_kind:     global_buffer
    .group_segment_fixed_size: 0
    .kernarg_segment_align: 8
    .kernarg_segment_size: 88
    .language:       OpenCL C
    .language_version:
      - 2
      - 0
    .max_flat_workgroup_size: 64
    .name:           fft_rtc_fwd_len480_factors_10_8_6_wgs_64_tpt_16_halfLds_sp_ip_CI_unitstride_sbrr_dirReg
    .private_segment_fixed_size: 0
    .sgpr_count:     26
    .sgpr_spill_count: 0
    .symbol:         fft_rtc_fwd_len480_factors_10_8_6_wgs_64_tpt_16_halfLds_sp_ip_CI_unitstride_sbrr_dirReg.kd
    .uniform_work_group_size: 1
    .uses_dynamic_stack: false
    .vgpr_count:     122
    .vgpr_spill_count: 0
    .wavefront_size: 64
amdhsa.target:   amdgcn-amd-amdhsa--gfx906
amdhsa.version:
  - 1
  - 2
...

	.end_amdgpu_metadata
